;; amdgpu-corpus repo=ROCm/rocFFT kind=compiled arch=gfx1030 opt=O3
	.text
	.amdgcn_target "amdgcn-amd-amdhsa--gfx1030"
	.amdhsa_code_object_version 6
	.protected	fft_rtc_fwd_len1428_factors_17_2_7_6_wgs_119_tpt_119_halfLds_dp_ip_CI_unitstride_sbrr_dirReg ; -- Begin function fft_rtc_fwd_len1428_factors_17_2_7_6_wgs_119_tpt_119_halfLds_dp_ip_CI_unitstride_sbrr_dirReg
	.globl	fft_rtc_fwd_len1428_factors_17_2_7_6_wgs_119_tpt_119_halfLds_dp_ip_CI_unitstride_sbrr_dirReg
	.p2align	8
	.type	fft_rtc_fwd_len1428_factors_17_2_7_6_wgs_119_tpt_119_halfLds_dp_ip_CI_unitstride_sbrr_dirReg,@function
fft_rtc_fwd_len1428_factors_17_2_7_6_wgs_119_tpt_119_halfLds_dp_ip_CI_unitstride_sbrr_dirReg: ; @fft_rtc_fwd_len1428_factors_17_2_7_6_wgs_119_tpt_119_halfLds_dp_ip_CI_unitstride_sbrr_dirReg
; %bb.0:
	s_clause 0x2
	s_load_dwordx4 s[8:11], s[4:5], 0x0
	s_load_dwordx2 s[2:3], s[4:5], 0x50
	s_load_dwordx2 s[12:13], s[4:5], 0x18
	v_mul_u32_u24_e32 v1, 0x227, v0
	v_mov_b32_e32 v3, 0
	v_add_nc_u32_sdwa v5, s6, v1 dst_sel:DWORD dst_unused:UNUSED_PAD src0_sel:DWORD src1_sel:WORD_1
	v_mov_b32_e32 v1, 0
	v_mov_b32_e32 v6, v3
	v_mov_b32_e32 v2, 0
	s_waitcnt lgkmcnt(0)
	v_cmp_lt_u64_e64 s0, s[10:11], 2
	s_and_b32 vcc_lo, exec_lo, s0
	s_cbranch_vccnz .LBB0_8
; %bb.1:
	s_load_dwordx2 s[0:1], s[4:5], 0x10
	v_mov_b32_e32 v1, 0
	s_add_u32 s6, s12, 8
	v_mov_b32_e32 v2, 0
	s_addc_u32 s7, s13, 0
	s_mov_b64 s[16:17], 1
	s_waitcnt lgkmcnt(0)
	s_add_u32 s14, s0, 8
	s_addc_u32 s15, s1, 0
.LBB0_2:                                ; =>This Inner Loop Header: Depth=1
	s_load_dwordx2 s[18:19], s[14:15], 0x0
                                        ; implicit-def: $vgpr7_vgpr8
	s_mov_b32 s0, exec_lo
	s_waitcnt lgkmcnt(0)
	v_or_b32_e32 v4, s19, v6
	v_cmpx_ne_u64_e32 0, v[3:4]
	s_xor_b32 s1, exec_lo, s0
	s_cbranch_execz .LBB0_4
; %bb.3:                                ;   in Loop: Header=BB0_2 Depth=1
	v_cvt_f32_u32_e32 v4, s18
	v_cvt_f32_u32_e32 v7, s19
	s_sub_u32 s0, 0, s18
	s_subb_u32 s20, 0, s19
	v_fmac_f32_e32 v4, 0x4f800000, v7
	v_rcp_f32_e32 v4, v4
	v_mul_f32_e32 v4, 0x5f7ffffc, v4
	v_mul_f32_e32 v7, 0x2f800000, v4
	v_trunc_f32_e32 v7, v7
	v_fmac_f32_e32 v4, 0xcf800000, v7
	v_cvt_u32_f32_e32 v7, v7
	v_cvt_u32_f32_e32 v4, v4
	v_mul_lo_u32 v8, s0, v7
	v_mul_hi_u32 v9, s0, v4
	v_mul_lo_u32 v10, s20, v4
	v_add_nc_u32_e32 v8, v9, v8
	v_mul_lo_u32 v9, s0, v4
	v_add_nc_u32_e32 v8, v8, v10
	v_mul_hi_u32 v10, v4, v9
	v_mul_lo_u32 v11, v4, v8
	v_mul_hi_u32 v12, v4, v8
	v_mul_hi_u32 v13, v7, v9
	v_mul_lo_u32 v9, v7, v9
	v_mul_hi_u32 v14, v7, v8
	v_mul_lo_u32 v8, v7, v8
	v_add_co_u32 v10, vcc_lo, v10, v11
	v_add_co_ci_u32_e32 v11, vcc_lo, 0, v12, vcc_lo
	v_add_co_u32 v9, vcc_lo, v10, v9
	v_add_co_ci_u32_e32 v9, vcc_lo, v11, v13, vcc_lo
	v_add_co_ci_u32_e32 v10, vcc_lo, 0, v14, vcc_lo
	v_add_co_u32 v8, vcc_lo, v9, v8
	v_add_co_ci_u32_e32 v9, vcc_lo, 0, v10, vcc_lo
	v_add_co_u32 v4, vcc_lo, v4, v8
	v_add_co_ci_u32_e32 v7, vcc_lo, v7, v9, vcc_lo
	v_mul_hi_u32 v8, s0, v4
	v_mul_lo_u32 v10, s20, v4
	v_mul_lo_u32 v9, s0, v7
	v_add_nc_u32_e32 v8, v8, v9
	v_mul_lo_u32 v9, s0, v4
	v_add_nc_u32_e32 v8, v8, v10
	v_mul_hi_u32 v10, v4, v9
	v_mul_lo_u32 v11, v4, v8
	v_mul_hi_u32 v12, v4, v8
	v_mul_hi_u32 v13, v7, v9
	v_mul_lo_u32 v9, v7, v9
	v_mul_hi_u32 v14, v7, v8
	v_mul_lo_u32 v8, v7, v8
	v_add_co_u32 v10, vcc_lo, v10, v11
	v_add_co_ci_u32_e32 v11, vcc_lo, 0, v12, vcc_lo
	v_add_co_u32 v9, vcc_lo, v10, v9
	v_add_co_ci_u32_e32 v9, vcc_lo, v11, v13, vcc_lo
	v_add_co_ci_u32_e32 v10, vcc_lo, 0, v14, vcc_lo
	v_add_co_u32 v8, vcc_lo, v9, v8
	v_add_co_ci_u32_e32 v9, vcc_lo, 0, v10, vcc_lo
	v_add_co_u32 v4, vcc_lo, v4, v8
	v_add_co_ci_u32_e32 v11, vcc_lo, v7, v9, vcc_lo
	v_mul_hi_u32 v13, v5, v4
	v_mad_u64_u32 v[9:10], null, v6, v4, 0
	v_mad_u64_u32 v[7:8], null, v5, v11, 0
	;; [unrolled: 1-line block ×3, first 2 shown]
	v_add_co_u32 v4, vcc_lo, v13, v7
	v_add_co_ci_u32_e32 v7, vcc_lo, 0, v8, vcc_lo
	v_add_co_u32 v4, vcc_lo, v4, v9
	v_add_co_ci_u32_e32 v4, vcc_lo, v7, v10, vcc_lo
	v_add_co_ci_u32_e32 v7, vcc_lo, 0, v12, vcc_lo
	v_add_co_u32 v4, vcc_lo, v4, v11
	v_add_co_ci_u32_e32 v9, vcc_lo, 0, v7, vcc_lo
	v_mul_lo_u32 v10, s19, v4
	v_mad_u64_u32 v[7:8], null, s18, v4, 0
	v_mul_lo_u32 v11, s18, v9
	v_sub_co_u32 v7, vcc_lo, v5, v7
	v_add3_u32 v8, v8, v11, v10
	v_sub_nc_u32_e32 v10, v6, v8
	v_subrev_co_ci_u32_e64 v10, s0, s19, v10, vcc_lo
	v_add_co_u32 v11, s0, v4, 2
	v_add_co_ci_u32_e64 v12, s0, 0, v9, s0
	v_sub_co_u32 v13, s0, v7, s18
	v_sub_co_ci_u32_e32 v8, vcc_lo, v6, v8, vcc_lo
	v_subrev_co_ci_u32_e64 v10, s0, 0, v10, s0
	v_cmp_le_u32_e32 vcc_lo, s18, v13
	v_cmp_eq_u32_e64 s0, s19, v8
	v_cndmask_b32_e64 v13, 0, -1, vcc_lo
	v_cmp_le_u32_e32 vcc_lo, s19, v10
	v_cndmask_b32_e64 v14, 0, -1, vcc_lo
	v_cmp_le_u32_e32 vcc_lo, s18, v7
	;; [unrolled: 2-line block ×3, first 2 shown]
	v_cndmask_b32_e64 v15, 0, -1, vcc_lo
	v_cmp_eq_u32_e32 vcc_lo, s19, v10
	v_cndmask_b32_e64 v7, v15, v7, s0
	v_cndmask_b32_e32 v10, v14, v13, vcc_lo
	v_add_co_u32 v13, vcc_lo, v4, 1
	v_add_co_ci_u32_e32 v14, vcc_lo, 0, v9, vcc_lo
	v_cmp_ne_u32_e32 vcc_lo, 0, v10
	v_cndmask_b32_e32 v8, v14, v12, vcc_lo
	v_cndmask_b32_e32 v10, v13, v11, vcc_lo
	v_cmp_ne_u32_e32 vcc_lo, 0, v7
	v_cndmask_b32_e32 v8, v9, v8, vcc_lo
	v_cndmask_b32_e32 v7, v4, v10, vcc_lo
.LBB0_4:                                ;   in Loop: Header=BB0_2 Depth=1
	s_andn2_saveexec_b32 s0, s1
	s_cbranch_execz .LBB0_6
; %bb.5:                                ;   in Loop: Header=BB0_2 Depth=1
	v_cvt_f32_u32_e32 v4, s18
	s_sub_i32 s1, 0, s18
	v_rcp_iflag_f32_e32 v4, v4
	v_mul_f32_e32 v4, 0x4f7ffffe, v4
	v_cvt_u32_f32_e32 v4, v4
	v_mul_lo_u32 v7, s1, v4
	v_mul_hi_u32 v7, v4, v7
	v_add_nc_u32_e32 v4, v4, v7
	v_mul_hi_u32 v4, v5, v4
	v_mul_lo_u32 v7, v4, s18
	v_add_nc_u32_e32 v8, 1, v4
	v_sub_nc_u32_e32 v7, v5, v7
	v_subrev_nc_u32_e32 v9, s18, v7
	v_cmp_le_u32_e32 vcc_lo, s18, v7
	v_cndmask_b32_e32 v7, v7, v9, vcc_lo
	v_cndmask_b32_e32 v4, v4, v8, vcc_lo
	v_cmp_le_u32_e32 vcc_lo, s18, v7
	v_add_nc_u32_e32 v8, 1, v4
	v_cndmask_b32_e32 v7, v4, v8, vcc_lo
	v_mov_b32_e32 v8, v3
.LBB0_6:                                ;   in Loop: Header=BB0_2 Depth=1
	s_or_b32 exec_lo, exec_lo, s0
	s_load_dwordx2 s[0:1], s[6:7], 0x0
	v_mul_lo_u32 v4, v8, s18
	v_mul_lo_u32 v11, v7, s19
	v_mad_u64_u32 v[9:10], null, v7, s18, 0
	s_add_u32 s16, s16, 1
	s_addc_u32 s17, s17, 0
	s_add_u32 s6, s6, 8
	s_addc_u32 s7, s7, 0
	;; [unrolled: 2-line block ×3, first 2 shown]
	v_add3_u32 v4, v10, v11, v4
	v_sub_co_u32 v5, vcc_lo, v5, v9
	v_sub_co_ci_u32_e32 v4, vcc_lo, v6, v4, vcc_lo
	s_waitcnt lgkmcnt(0)
	v_mul_lo_u32 v6, s1, v5
	v_mul_lo_u32 v4, s0, v4
	v_mad_u64_u32 v[1:2], null, s0, v5, v[1:2]
	v_cmp_ge_u64_e64 s0, s[16:17], s[10:11]
	s_and_b32 vcc_lo, exec_lo, s0
	v_add3_u32 v2, v6, v2, v4
	s_cbranch_vccnz .LBB0_9
; %bb.7:                                ;   in Loop: Header=BB0_2 Depth=1
	v_mov_b32_e32 v5, v7
	v_mov_b32_e32 v6, v8
	s_branch .LBB0_2
.LBB0_8:
	v_mov_b32_e32 v8, v6
	v_mov_b32_e32 v7, v5
.LBB0_9:
	s_lshl_b64 s[0:1], s[10:11], 3
	v_mul_hi_u32 v3, 0x226b903, v0
	s_add_u32 s0, s12, s0
	s_addc_u32 s1, s13, s1
                                        ; implicit-def: $vgpr10_vgpr11
                                        ; implicit-def: $vgpr14_vgpr15
                                        ; implicit-def: $vgpr18_vgpr19
                                        ; implicit-def: $vgpr26_vgpr27
                                        ; implicit-def: $vgpr38_vgpr39
                                        ; implicit-def: $vgpr46_vgpr47
                                        ; implicit-def: $vgpr22_vgpr23
                                        ; implicit-def: $vgpr30_vgpr31
                                        ; implicit-def: $vgpr34_vgpr35
                                        ; implicit-def: $vgpr42_vgpr43
                                        ; implicit-def: $vgpr50_vgpr51
                                        ; implicit-def: $vgpr54_vgpr55
                                        ; implicit-def: $vgpr58_vgpr59
                                        ; implicit-def: $vgpr62_vgpr63
                                        ; implicit-def: $vgpr66_vgpr67
	s_load_dwordx2 s[0:1], s[0:1], 0x0
	s_load_dwordx2 s[4:5], s[4:5], 0x20
	v_mul_u32_u24_e32 v3, 0x77, v3
	v_sub_nc_u32_e32 v96, v0, v3
	s_waitcnt lgkmcnt(0)
	v_mul_lo_u32 v4, s0, v8
	v_mul_lo_u32 v5, s1, v7
	v_mad_u64_u32 v[1:2], null, s0, v7, v[1:2]
	v_cmp_gt_u64_e32 vcc_lo, s[4:5], v[7:8]
	v_cmp_gt_u32_e64 s0, 0x54, v96
                                        ; implicit-def: $vgpr6_vgpr7
	s_and_b32 s1, vcc_lo, s0
	v_add3_u32 v2, v5, v2, v4
	v_lshlrev_b64 v[98:99], 4, v[1:2]
                                        ; implicit-def: $vgpr2_vgpr3
	s_and_saveexec_b32 s4, s1
	s_cbranch_execz .LBB0_11
; %bb.10:
	v_mov_b32_e32 v97, 0
	v_add_co_u32 v2, s1, s2, v98
	v_add_co_ci_u32_e64 v3, s1, s3, v99, s1
	v_lshlrev_b64 v[0:1], 4, v[96:97]
	v_add_co_u32 v0, s1, v2, v0
	v_add_co_ci_u32_e64 v1, s1, v3, v1, s1
	s_clause 0x1
	global_load_dwordx4 v[4:7], v[0:1], off
	global_load_dwordx4 v[64:67], v[0:1], off offset:1344
	v_add_co_u32 v2, s1, 0x800, v0
	v_add_co_ci_u32_e64 v3, s1, 0, v1, s1
	v_add_co_u32 v8, s1, 0x1000, v0
	v_add_co_ci_u32_e64 v9, s1, 0, v1, s1
	s_clause 0x1
	global_load_dwordx4 v[60:63], v[2:3], off offset:640
	global_load_dwordx4 v[56:59], v[2:3], off offset:1984
	v_add_co_u32 v2, s1, 0x1800, v0
	v_add_co_ci_u32_e64 v3, s1, 0, v1, s1
	v_add_co_u32 v10, s1, 0x2000, v0
	v_add_co_ci_u32_e64 v11, s1, 0, v1, s1
	;; [unrolled: 2-line block ×3, first 2 shown]
	s_clause 0x5
	global_load_dwordx4 v[52:55], v[8:9], off offset:1280
	global_load_dwordx4 v[48:51], v[2:3], off offset:576
	;; [unrolled: 1-line block ×6, first 2 shown]
	v_add_co_u32 v2, s1, 0x3000, v0
	v_add_co_ci_u32_e64 v3, s1, 0, v1, s1
	v_add_co_u32 v8, s1, 0x3800, v0
	v_add_co_ci_u32_e64 v9, s1, 0, v1, s1
	;; [unrolled: 2-line block ×5, first 2 shown]
	s_clause 0x6
	global_load_dwordx4 v[44:47], v[2:3], off offset:1152
	global_load_dwordx4 v[36:39], v[8:9], off offset:448
	;; [unrolled: 1-line block ×7, first 2 shown]
.LBB0_11:
	s_or_b32 exec_lo, exec_lo, s4
	s_waitcnt vmcnt(0)
	v_add_f64 v[68:69], v[0:1], v[64:65]
	s_mov_b32 s10, 0x3259b75e
	s_mov_b32 s12, 0xc61f0d01
	;; [unrolled: 1-line block ×4, first 2 shown]
	v_add_f64 v[76:77], v[66:67], -v[2:3]
	v_add_f64 v[70:71], v[8:9], v[60:61]
	s_mov_b32 s26, 0xeb564b22
	s_mov_b32 s14, 0x7faef3
	s_mov_b32 s28, 0x923c349f
	s_mov_b32 s16, 0x910ea3b9
	s_mov_b32 s27, 0xbfefdd0d
	s_mov_b32 s15, 0xbfef7484
	s_mov_b32 s29, 0xbfeec746
	s_mov_b32 s17, 0xbfeb34fa
	v_add_f64 v[90:91], v[62:63], -v[10:11]
	v_add_f64 v[84:85], v[12:13], v[56:57]
	s_mov_b32 s22, 0xacd6c6b4
	s_mov_b32 s30, 0x4363dd80
	s_mov_b32 s6, 0x75d4884
	s_mov_b32 s23, 0xbfc7851a
	s_mov_b32 s31, 0x3fe0d888
	v_mul_f64 v[86:87], v[68:69], s[10:11]
	v_mul_f64 v[88:89], v[68:69], s[12:13]
	s_mov_b32 s7, 0x3fe7a5f6
	v_add_f64 v[104:105], v[58:59], -v[14:15]
	v_add_f64 v[72:73], v[16:17], v[52:53]
	s_mov_b32 s24, 0x2a9d6da3
	v_mul_f64 v[92:93], v[70:71], s[14:15]
	v_mul_f64 v[94:95], v[70:71], s[16:17]
	s_mov_b32 s18, 0x370991
	s_mov_b32 s20, 0x2b2883cd
	;; [unrolled: 1-line block ×7, first 2 shown]
	v_add_f64 v[114:115], v[54:55], -v[18:19]
	v_mul_f64 v[106:107], v[84:85], s[12:13]
	v_mul_f64 v[108:109], v[84:85], s[6:7]
	s_mov_b32 s38, 0x5d8e7cdc
	s_mov_b32 s36, 0x7c9e640b
	;; [unrolled: 1-line block ×4, first 2 shown]
	v_fma_f64 v[74:75], v[76:77], s[26:27], v[86:87]
	v_fma_f64 v[78:79], v[76:77], s[28:29], v[88:89]
	v_add_f64 v[120:121], v[50:51], -v[26:27]
	s_mov_b32 s4, 0x6ed5f1bb
	v_mul_f64 v[110:111], v[72:73], s[18:19]
	v_mul_f64 v[112:113], v[72:73], s[20:21]
	v_fma_f64 v[80:81], v[90:91], s[22:23], v[92:93]
	v_fma_f64 v[82:83], v[90:91], s[30:31], v[94:95]
	s_mov_b32 s41, 0xbfe0d888
	s_mov_b32 s43, 0x3fefdd0d
	;; [unrolled: 1-line block ×8, first 2 shown]
	v_fma_f64 v[102:103], v[104:105], s[34:35], v[106:107]
	v_fma_f64 v[122:123], v[104:105], s[24:25], v[108:109]
	s_mov_b32 s46, s38
	s_mov_b32 s49, 0xbfe9895b
	;; [unrolled: 1-line block ×3, first 2 shown]
	v_add_f64 v[74:75], v[4:5], v[74:75]
	v_add_f64 v[100:101], v[4:5], v[78:79]
	;; [unrolled: 1-line block ×3, first 2 shown]
	v_fma_f64 v[128:129], v[114:115], s[36:37], v[112:113]
	v_add_f64 v[80:81], v[80:81], v[74:75]
	v_add_f64 v[82:83], v[82:83], v[100:101]
	;; [unrolled: 1-line block ×3, first 2 shown]
	v_mul_f64 v[116:117], v[78:79], s[20:21]
	v_mul_f64 v[118:119], v[78:79], s[14:15]
	v_fma_f64 v[100:101], v[114:115], s[38:39], v[110:111]
	v_add_f64 v[102:103], v[102:103], v[80:81]
	v_add_f64 v[82:83], v[122:123], v[82:83]
	v_add_f64 v[122:123], v[42:43], -v[38:39]
	v_add_f64 v[80:81], v[44:45], v[32:33]
	v_mul_f64 v[124:125], v[74:75], s[16:17]
	v_mul_f64 v[126:127], v[74:75], s[10:11]
	v_fma_f64 v[134:135], v[120:121], s[36:37], v[116:117]
	v_fma_f64 v[136:137], v[120:121], s[22:23], v[118:119]
	v_add_f64 v[100:101], v[100:101], v[102:103]
	v_add_f64 v[102:103], v[128:129], v[82:83]
	v_add_f64 v[128:129], v[34:35], -v[46:47]
	v_add_f64 v[82:83], v[20:21], v[28:29]
	v_mul_f64 v[130:131], v[80:81], s[4:5]
	v_mul_f64 v[132:133], v[80:81], s[18:19]
	v_fma_f64 v[140:141], v[122:123], s[40:41], v[124:125]
	v_fma_f64 v[142:143], v[122:123], s[42:43], v[126:127]
	v_add_f64 v[100:101], v[134:135], v[100:101]
	v_add_f64 v[102:103], v[136:137], v[102:103]
	v_add_f64 v[136:137], v[30:31], -v[22:23]
	v_mul_f64 v[134:135], v[82:83], s[6:7]
	v_mul_f64 v[138:139], v[82:83], s[4:5]
	v_fma_f64 v[144:145], v[128:129], s[44:45], v[130:131]
	v_fma_f64 v[146:147], v[128:129], s[46:47], v[132:133]
	v_add_f64 v[100:101], v[140:141], v[100:101]
	v_add_f64 v[102:103], v[142:143], v[102:103]
	v_fma_f64 v[140:141], v[136:137], s[24:25], v[134:135]
	v_fma_f64 v[142:143], v[136:137], s[48:49], v[138:139]
	v_add_f64 v[100:101], v[144:145], v[100:101]
	v_add_f64 v[102:103], v[146:147], v[102:103]
	;; [unrolled: 1-line block ×4, first 2 shown]
	s_and_saveexec_b32 s1, s0
	s_cbranch_execz .LBB0_13
; %bb.12:
	v_add_f64 v[140:141], v[64:65], v[4:5]
	v_mul_f64 v[142:143], v[136:137], s[48:49]
	v_mul_f64 v[146:147], v[122:123], s[42:43]
	;; [unrolled: 1-line block ×11, first 2 shown]
	s_mov_b32 s51, 0x3feca52d
	s_mov_b32 s50, s36
	;; [unrolled: 1-line block ×6, first 2 shown]
	v_mul_f64 v[144:145], v[128:129], s[46:47]
	v_mul_f64 v[148:149], v[120:121], s[22:23]
	;; [unrolled: 1-line block ×4, first 2 shown]
	v_add_f64 v[140:141], v[60:61], v[140:141]
	v_mul_f64 v[164:165], v[120:121], s[36:37]
	v_mul_f64 v[166:167], v[114:115], s[38:39]
	;; [unrolled: 1-line block ×18, first 2 shown]
	v_add_f64 v[138:139], v[138:139], -v[142:143]
	v_add_f64 v[126:127], v[126:127], -v[146:147]
	;; [unrolled: 1-line block ×3, first 2 shown]
	v_add_f64 v[140:141], v[56:57], v[140:141]
	v_add_f64 v[108:109], v[108:109], -v[152:153]
	v_add_f64 v[94:95], v[94:95], -v[154:155]
	;; [unrolled: 1-line block ×5, first 2 shown]
	v_fma_f64 v[142:143], v[68:69], s[14:15], v[174:175]
	v_fma_f64 v[146:147], v[68:69], s[14:15], -v[174:175]
	v_fma_f64 v[150:151], v[68:69], s[16:17], v[178:179]
	v_fma_f64 v[152:153], v[68:69], s[16:17], -v[178:179]
	;; [unrolled: 2-line block ×3, first 2 shown]
	v_add_f64 v[132:133], v[132:133], -v[144:145]
	v_add_f64 v[118:119], v[118:119], -v[148:149]
	;; [unrolled: 1-line block ×8, first 2 shown]
	v_fma_f64 v[144:145], v[70:71], s[18:19], v[176:177]
	v_fma_f64 v[148:149], v[70:71], s[18:19], -v[176:177]
	v_add_f64 v[140:141], v[52:53], v[140:141]
	v_fma_f64 v[156:157], v[70:71], s[12:13], v[182:183]
	v_fma_f64 v[160:161], v[70:71], s[12:13], -v[182:183]
	v_fma_f64 v[162:163], v[84:85], s[16:17], v[184:185]
	v_fma_f64 v[164:165], v[84:85], s[16:17], -v[184:185]
	;; [unrolled: 2-line block ×4, first 2 shown]
	v_fma_f64 v[174:175], v[68:69], s[20:21], v[190:191]
	v_fma_f64 v[176:177], v[70:71], s[4:5], v[192:193]
	v_fma_f64 v[178:179], v[68:69], s[20:21], -v[190:191]
	v_fma_f64 v[180:181], v[70:71], s[4:5], -v[192:193]
	v_fma_f64 v[182:183], v[70:71], s[10:11], v[218:219]
	v_fma_f64 v[184:185], v[84:85], s[4:5], v[220:221]
	v_fma_f64 v[186:187], v[70:71], s[10:11], -v[218:219]
	v_fma_f64 v[188:189], v[68:69], s[18:19], v[222:223]
	v_fma_f64 v[190:191], v[68:69], s[18:19], -v[222:223]
	v_fma_f64 v[192:193], v[84:85], s[4:5], -v[220:221]
	v_fma_f64 v[218:219], v[84:85], s[20:21], v[224:225]
	v_fma_f64 v[220:221], v[84:85], s[20:21], -v[224:225]
	v_fma_f64 v[222:223], v[70:71], s[20:21], v[250:251]
	v_add_f64 v[140:141], v[48:49], v[140:141]
	v_fma_f64 v[224:225], v[70:71], s[20:21], -v[250:251]
	v_fma_f64 v[250:251], v[84:85], s[14:15], v[104:105]
	v_fma_f64 v[84:85], v[84:85], s[14:15], -v[104:105]
	v_fma_f64 v[104:105], v[68:69], s[6:7], v[76:77]
	v_fma_f64 v[68:69], v[68:69], s[6:7], -v[76:77]
	v_mul_f64 v[90:91], v[90:91], s[54:55]
	v_add_f64 v[142:143], v[4:5], v[142:143]
	v_add_f64 v[146:147], v[4:5], v[146:147]
	;; [unrolled: 1-line block ×11, first 2 shown]
	v_mul_f64 v[194:195], v[114:115], s[24:25]
	v_mul_f64 v[196:197], v[114:115], s[44:45]
	;; [unrolled: 1-line block ×4, first 2 shown]
	v_add_f64 v[140:141], v[40:41], v[140:141]
	v_mul_f64 v[226:227], v[114:115], s[22:23]
	v_mul_f64 v[114:115], v[114:115], s[26:27]
	;; [unrolled: 1-line block ×3, first 2 shown]
	v_add_f64 v[104:105], v[4:5], v[104:105]
	v_add_f64 v[68:69], v[4:5], v[68:69]
	v_fma_f64 v[76:77], v[70:71], s[6:7], v[90:91]
	v_fma_f64 v[70:71], v[70:71], s[6:7], -v[90:91]
	v_add_f64 v[4:5], v[4:5], v[188:189]
	v_add_f64 v[142:143], v[144:145], v[142:143]
	;; [unrolled: 1-line block ×11, first 2 shown]
	v_mul_f64 v[204:205], v[120:121], s[46:47]
	v_mul_f64 v[206:207], v[120:121], s[42:43]
	v_fma_f64 v[90:91], v[72:73], s[6:7], v[194:195]
	v_add_f64 v[140:141], v[32:33], v[140:141]
	v_fma_f64 v[194:195], v[72:73], s[6:7], -v[194:195]
	v_fma_f64 v[144:145], v[72:73], s[4:5], v[196:197]
	v_fma_f64 v[196:197], v[72:73], s[4:5], -v[196:197]
	v_add_f64 v[104:105], v[182:183], v[104:105]
	v_add_f64 v[68:69], v[186:187], v[68:69]
	v_fma_f64 v[148:149], v[72:73], s[16:17], v[198:199]
	v_add_f64 v[70:71], v[70:71], v[190:191]
	v_add_f64 v[4:5], v[76:77], v[4:5]
	v_fma_f64 v[198:199], v[72:73], s[16:17], -v[198:199]
	v_add_f64 v[142:143], v[162:163], v[142:143]
	v_add_f64 v[146:147], v[164:165], v[146:147]
	;; [unrolled: 1-line block ×8, first 2 shown]
	v_mul_f64 v[208:209], v[122:123], s[22:23]
	v_mul_f64 v[210:211], v[128:129], s[28:29]
	;; [unrolled: 1-line block ×4, first 2 shown]
	v_add_f64 v[140:141], v[28:29], v[140:141]
	v_mul_f64 v[216:217], v[120:121], s[24:25]
	v_mul_f64 v[228:229], v[122:123], s[46:47]
	;; [unrolled: 1-line block ×3, first 2 shown]
	v_fma_f64 v[222:223], v[72:73], s[12:13], v[200:201]
	v_fma_f64 v[200:201], v[72:73], s[12:13], -v[200:201]
	v_fma_f64 v[76:77], v[72:73], s[14:15], -v[226:227]
	v_add_f64 v[84:85], v[84:85], v[178:179]
	v_add_f64 v[68:69], v[192:193], v[68:69]
	v_fma_f64 v[186:187], v[72:73], s[14:15], v[226:227]
	v_fma_f64 v[182:183], v[72:73], s[10:11], v[114:115]
	v_fma_f64 v[72:73], v[72:73], s[10:11], -v[114:115]
	v_add_f64 v[106:107], v[250:251], v[174:175]
	v_add_f64 v[70:71], v[220:221], v[70:71]
	v_add_f64 v[104:105], v[184:185], v[104:105]
	v_mul_f64 v[120:121], v[120:121], s[28:29]
	v_add_f64 v[4:5], v[218:219], v[4:5]
	v_mul_f64 v[234:235], v[122:123], s[34:35]
	v_mul_f64 v[236:237], v[122:123], s[48:49]
	v_mul_f64 v[252:253], v[122:123], s[50:51]
	v_mul_f64 v[122:123], v[122:123], s[54:55]
	v_fma_f64 v[224:225], v[78:79], s[4:5], v[202:203]
	v_add_f64 v[140:141], v[20:21], v[140:141]
	v_fma_f64 v[202:203], v[78:79], s[4:5], -v[202:203]
	v_fma_f64 v[156:157], v[78:79], s[18:19], v[204:205]
	v_fma_f64 v[204:205], v[78:79], s[18:19], -v[204:205]
	v_fma_f64 v[160:161], v[78:79], s[10:11], v[206:207]
	v_fma_f64 v[188:189], v[78:79], s[10:11], -v[206:207]
	v_add_f64 v[90:91], v[90:91], v[142:143]
	v_add_f64 v[142:143], v[194:195], v[146:147]
	;; [unrolled: 1-line block ×8, first 2 shown]
	v_fma_f64 v[94:95], v[74:75], s[14:15], v[208:209]
	v_fma_f64 v[206:207], v[74:75], s[14:15], -v[208:209]
	v_fma_f64 v[92:93], v[80:81], s[12:13], v[210:211]
	v_fma_f64 v[208:209], v[80:81], s[12:13], -v[210:211]
	;; [unrolled: 2-line block ×4, first 2 shown]
	v_add_f64 v[140:141], v[44:45], v[140:141]
	v_fma_f64 v[190:191], v[78:79], s[6:7], v[216:217]
	v_fma_f64 v[214:215], v[78:79], s[6:7], -v[216:217]
	v_fma_f64 v[114:115], v[74:75], s[18:19], v[228:229]
	v_fma_f64 v[216:217], v[74:75], s[18:19], -v[228:229]
	v_fma_f64 v[228:229], v[78:79], s[16:17], -v[230:231]
	v_add_f64 v[84:85], v[200:201], v[84:85]
	v_add_f64 v[68:69], v[76:77], v[68:69]
	v_fma_f64 v[226:227], v[78:79], s[16:17], v[230:231]
	v_add_f64 v[106:107], v[222:223], v[106:107]
	v_add_f64 v[70:71], v[72:73], v[70:71]
	;; [unrolled: 1-line block ×4, first 2 shown]
	v_fma_f64 v[164:165], v[74:75], s[12:13], v[234:235]
	v_fma_f64 v[166:167], v[74:75], s[12:13], -v[234:235]
	v_fma_f64 v[168:169], v[74:75], s[4:5], v[236:237]
	v_fma_f64 v[104:105], v[74:75], s[4:5], -v[236:237]
	;; [unrolled: 2-line block ×4, first 2 shown]
	v_add_f64 v[122:123], v[202:203], v[142:143]
	v_add_f64 v[108:109], v[36:37], v[140:141]
	v_fma_f64 v[140:141], v[78:79], s[12:13], v[120:121]
	v_fma_f64 v[78:79], v[78:79], s[12:13], -v[120:121]
	v_add_f64 v[142:143], v[156:157], v[144:145]
	v_add_f64 v[144:145], v[204:205], v[146:147]
	;; [unrolled: 1-line block ×7, first 2 shown]
	v_mul_f64 v[232:233], v[128:129], s[26:27]
	v_mul_f64 v[248:249], v[128:129], s[40:41]
	;; [unrolled: 1-line block ×3, first 2 shown]
	v_add_f64 v[84:85], v[214:215], v[84:85]
	v_add_f64 v[68:69], v[228:229], v[68:69]
	;; [unrolled: 1-line block ×4, first 2 shown]
	v_mul_f64 v[238:239], v[136:137], s[42:43]
	v_mul_f64 v[240:241], v[136:137], s[28:29]
	;; [unrolled: 1-line block ×5, first 2 shown]
	v_add_f64 v[76:77], v[24:25], v[108:109]
	v_add_f64 v[4:5], v[140:141], v[4:5]
	;; [unrolled: 1-line block ×3, first 2 shown]
	v_mul_f64 v[136:137], v[136:137], s[50:51]
	v_add_f64 v[94:95], v[94:95], v[142:143]
	v_mad_u32_u24 v97, 0x88, v96, 0
	v_add_f64 v[74:75], v[74:75], v[148:149]
	v_add_f64 v[88:89], v[126:127], v[88:89]
	;; [unrolled: 1-line block ×6, first 2 shown]
	v_fma_f64 v[120:121], v[80:81], s[10:11], v[232:233]
	v_fma_f64 v[162:163], v[80:81], s[10:11], -v[232:233]
	v_fma_f64 v[140:141], v[80:81], s[16:17], v[248:249]
	v_fma_f64 v[150:151], v[80:81], s[16:17], -v[248:249]
	;; [unrolled: 2-line block ×3, first 2 shown]
	v_add_f64 v[128:129], v[154:155], v[146:147]
	v_add_f64 v[84:85], v[216:217], v[84:85]
	v_add_f64 v[68:69], v[166:167], v[68:69]
	v_add_f64 v[106:107], v[114:115], v[106:107]
	v_add_f64 v[76:77], v[16:17], v[76:77]
	v_add_f64 v[72:73], v[164:165], v[72:73]
	v_add_f64 v[70:71], v[104:105], v[70:71]
	v_add_f64 v[4:5], v[168:169], v[4:5]
	v_fma_f64 v[108:109], v[82:83], s[10:11], v[238:239]
	v_fma_f64 v[110:111], v[82:83], s[10:11], -v[238:239]
	v_fma_f64 v[78:79], v[82:83], s[12:13], v[240:241]
	v_fma_f64 v[116:117], v[82:83], s[12:13], -v[240:241]
	;; [unrolled: 2-line block ×6, first 2 shown]
	v_add_f64 v[74:75], v[212:213], v[74:75]
	v_add_f64 v[88:89], v[132:133], v[88:89]
	;; [unrolled: 1-line block ×31, first 2 shown]
	ds_write2_b64 v97, v[102:103], v[100:101] offset0:12 offset1:13
	ds_write2_b64 v97, v[86:87], v[82:83] offset0:4 offset1:5
	;; [unrolled: 1-line block ×7, first 2 shown]
	ds_write2_b64 v97, v[76:77], v[70:71] offset1:1
	ds_write_b64 v97, v[4:5] offset:128
.LBB0_13:
	s_or_b32 exec_lo, exec_lo, s1
	v_add_f64 v[132:133], v[64:65], -v[0:1]
	v_add_f64 v[116:117], v[60:61], -v[8:9]
	v_add_f64 v[64:65], v[2:3], v[66:67]
	v_add_f64 v[122:123], v[56:57], -v[12:13]
	v_add_f64 v[60:61], v[10:11], v[62:63]
	v_add_f64 v[56:57], v[14:15], v[58:59]
	v_add_f64 v[124:125], v[52:53], -v[16:17]
	v_add_f64 v[52:53], v[18:19], v[54:55]
	v_add_f64 v[126:127], v[48:49], -v[24:25]
	;; [unrolled: 2-line block ×3, first 2 shown]
	v_add_f64 v[130:131], v[32:33], -v[44:45]
	v_lshl_add_u32 v160, v96, 3, 0
	s_waitcnt lgkmcnt(0)
	s_barrier
	buffer_gl0_inv
	v_add_nc_u32_e32 v162, 0x1400, v160
	v_add_nc_u32_e32 v163, 0x1c00, v160
	;; [unrolled: 1-line block ×5, first 2 shown]
	v_mul_f64 v[92:93], v[132:133], s[26:27]
	v_mul_f64 v[94:95], v[132:133], s[28:29]
	;; [unrolled: 1-line block ×12, first 2 shown]
	ds_read2_b64 v[80:83], v160 offset1:119
	v_fma_f64 v[0:1], v[64:65], s[10:11], -v[92:93]
	v_fma_f64 v[4:5], v[64:65], s[12:13], -v[94:95]
	;; [unrolled: 1-line block ×8, first 2 shown]
	v_add_f64 v[0:1], v[6:7], v[0:1]
	v_add_f64 v[4:5], v[6:7], v[4:5]
	;; [unrolled: 1-line block ×4, first 2 shown]
	v_fma_f64 v[8:9], v[52:53], s[18:19], -v[118:119]
	v_fma_f64 v[12:13], v[52:53], s[20:21], -v[120:121]
	v_add_f64 v[0:1], v[16:17], v[0:1]
	v_add_f64 v[4:5], v[24:25], v[4:5]
	;; [unrolled: 1-line block ×6, first 2 shown]
	v_add_f64 v[12:13], v[28:29], -v[20:21]
	v_mul_f64 v[20:21], v[130:131], s[44:45]
	v_mul_f64 v[28:29], v[130:131], s[46:47]
	v_fma_f64 v[72:73], v[24:25], s[16:17], -v[32:33]
	v_fma_f64 v[74:75], v[24:25], s[10:11], -v[44:45]
	v_add_f64 v[68:69], v[68:69], v[0:1]
	v_add_f64 v[70:71], v[70:71], v[4:5]
	;; [unrolled: 1-line block ×3, first 2 shown]
	v_mul_f64 v[4:5], v[12:13], s[24:25]
	v_mul_f64 v[8:9], v[12:13], s[48:49]
	v_fma_f64 v[76:77], v[16:17], s[4:5], -v[20:21]
	v_fma_f64 v[78:79], v[16:17], s[18:19], -v[28:29]
	v_add_f64 v[68:69], v[72:73], v[68:69]
	v_add_f64 v[70:71], v[74:75], v[70:71]
	v_fma_f64 v[72:73], v[0:1], s[6:7], -v[4:5]
	v_fma_f64 v[74:75], v[0:1], s[4:5], -v[8:9]
	v_add_f64 v[76:77], v[76:77], v[68:69]
	v_add_f64 v[78:79], v[78:79], v[70:71]
	ds_read2_b64 v[68:71], v162 offset0:74 offset1:193
	ds_read2_b64 v[84:87], v161 offset0:110 offset1:229
	v_add_f64 v[104:105], v[72:73], v[76:77]
	v_add_f64 v[106:107], v[74:75], v[78:79]
	ds_read2_b64 v[76:79], v163 offset0:56 offset1:175
	ds_read2_b64 v[88:91], v97 offset0:92 offset1:211
	;; [unrolled: 1-line block ×3, first 2 shown]
	s_waitcnt lgkmcnt(0)
	s_barrier
	buffer_gl0_inv
	s_and_saveexec_b32 s33, s0
	s_cbranch_execz .LBB0_15
; %bb.14:
	v_add_f64 v[165:166], v[66:67], v[6:7]
	v_mul_f64 v[146:147], v[52:53], s[20:21]
	v_mul_f64 v[148:149], v[48:49], s[20:21]
	s_mov_b32 s34, 0x5d8e7cdc
	s_mov_b32 s36, 0x2a9d6da3
	;; [unrolled: 1-line block ×12, first 2 shown]
	v_mul_f64 v[66:67], v[64:65], s[10:11]
	v_mul_f64 v[134:135], v[64:65], s[12:13]
	;; [unrolled: 1-line block ×7, first 2 shown]
	v_add_f64 v[62:63], v[62:63], v[165:166]
	v_mul_f64 v[165:166], v[132:133], s[34:35]
	v_mul_f64 v[167:168], v[132:133], s[36:37]
	v_mul_f64 v[169:170], v[132:133], s[46:47]
	v_mul_f64 v[171:172], v[132:133], s[38:39]
	v_mul_f64 v[173:174], v[132:133], s[20:21]
	v_mul_f64 v[132:133], v[132:133], s[24:25]
	v_mul_f64 v[154:155], v[24:25], s[10:11]
	v_mul_f64 v[158:159], v[16:17], s[18:19]
	s_mov_b32 s0, 0x370991
	s_mov_b32 s18, 0x75d4884
	;; [unrolled: 1-line block ×13, first 2 shown]
	v_add_f64 v[58:59], v[58:59], v[62:63]
	s_mov_b32 s43, 0x3feec746
	s_mov_b32 s27, 0x3feca52d
	;; [unrolled: 1-line block ×5, first 2 shown]
	v_mul_f64 v[150:151], v[48:49], s[14:15]
	v_mul_f64 v[152:153], v[24:25], s[16:17]
	v_mul_f64 v[156:157], v[16:17], s[4:5]
	v_mul_f64 v[175:176], v[116:117], s[36:37]
	v_mul_f64 v[177:178], v[116:117], s[40:41]
	v_mul_f64 v[179:180], v[116:117], s[42:43]
	v_mul_f64 v[217:218], v[116:117], s[26:27]
	v_add_f64 v[36:37], v[148:149], v[36:37]
	v_fma_f64 v[148:149], v[64:65], s[14:15], v[132:133]
	s_mov_b32 s16, 0x3259b75e
	s_mov_b32 s22, 0xc61f0d01
	s_mov_b32 s17, 0x3fb79ee6
	s_mov_b32 s23, 0xbfd183b1
	s_mov_b32 s51, 0x3fc7851a
	s_mov_b32 s50, s24
	v_mul_f64 v[181:182], v[122:123], s[46:47]
	v_add_f64 v[54:55], v[54:55], v[58:59]
	v_mul_f64 v[58:59], v[116:117], s[38:39]
	v_mul_f64 v[116:117], v[116:117], s[28:29]
	;; [unrolled: 1-line block ×4, first 2 shown]
	v_add_f64 v[44:45], v[154:155], v[44:45]
	v_add_f64 v[40:41], v[150:151], v[40:41]
	;; [unrolled: 1-line block ×5, first 2 shown]
	v_fma_f64 v[150:151], v[60:61], s[18:19], -v[175:176]
	v_fma_f64 v[152:153], v[60:61], s[16:17], v[177:178]
	v_fma_f64 v[154:155], v[60:61], s[16:17], -v[177:178]
	v_fma_f64 v[158:159], v[60:61], s[22:23], v[179:180]
	v_fma_f64 v[241:242], v[60:61], s[10:11], v[217:218]
	v_fma_f64 v[217:218], v[60:61], s[10:11], -v[217:218]
	v_mul_f64 v[185:186], v[122:123], s[34:35]
	v_mul_f64 v[187:188], v[122:123], s[40:41]
	;; [unrolled: 1-line block ×6, first 2 shown]
	v_add_f64 v[50:51], v[50:51], v[54:55]
	v_fma_f64 v[156:157], v[60:61], s[30:31], v[58:59]
	v_fma_f64 v[58:59], v[60:61], s[30:31], -v[58:59]
	v_fma_f64 v[243:244], v[60:61], s[0:1], v[116:117]
	s_mov_b32 s55, 0x3fe9895b
	s_mov_b32 s53, 0x3fe58eea
	;; [unrolled: 1-line block ×4, first 2 shown]
	v_mul_f64 v[191:192], v[124:125], s[40:41]
	v_mul_f64 v[193:194], v[124:125], s[24:25]
	;; [unrolled: 1-line block ×6, first 2 shown]
	s_mov_b32 s49, 0xbfeec746
	s_mov_b32 s48, s42
	v_fma_f64 v[177:178], v[56:57], s[0:1], -v[185:186]
	s_mov_b32 s57, 0x3fe0d888
	v_fma_f64 v[239:240], v[24:25], s[22:23], v[203:204]
	s_mov_b32 s45, 0x3fefdd0d
	s_mov_b32 s56, s20
	s_mov_b32 s44, s40
	v_add_f64 v[42:43], v[42:43], v[50:51]
	v_add_f64 v[50:51], v[66:67], v[92:93]
	;; [unrolled: 1-line block ×9, first 2 shown]
	v_fma_f64 v[118:119], v[64:65], s[0:1], v[165:166]
	v_fma_f64 v[120:121], v[64:65], s[0:1], -v[165:166]
	v_fma_f64 v[134:135], v[64:65], s[18:19], v[167:168]
	v_fma_f64 v[136:137], v[64:65], s[18:19], -v[167:168]
	;; [unrolled: 2-line block ×3, first 2 shown]
	v_fma_f64 v[142:143], v[64:65], s[30:31], v[171:172]
	v_fma_f64 v[144:145], v[64:65], s[12:13], v[173:174]
	v_fma_f64 v[146:147], v[64:65], s[12:13], -v[173:174]
	v_fma_f64 v[165:166], v[60:61], s[22:23], -v[179:180]
	v_fma_f64 v[167:168], v[56:57], s[10:11], v[181:182]
	v_fma_f64 v[173:174], v[56:57], s[30:31], -v[183:184]
	v_fma_f64 v[169:170], v[56:57], s[10:11], -v[181:182]
	v_add_f64 v[34:35], v[34:35], v[42:43]
	v_fma_f64 v[42:43], v[64:65], s[30:31], -v[171:172]
	v_fma_f64 v[64:65], v[64:65], s[14:15], -v[132:133]
	v_fma_f64 v[132:133], v[60:61], s[18:19], v[175:176]
	v_add_f64 v[50:51], v[6:7], v[50:51]
	v_add_f64 v[66:67], v[6:7], v[66:67]
	v_fma_f64 v[171:172], v[56:57], s[30:31], v[183:184]
	v_fma_f64 v[183:184], v[56:57], s[12:13], -v[189:190]
	v_fma_f64 v[175:176], v[56:57], s[0:1], v[185:186]
	v_add_f64 v[118:119], v[6:7], v[118:119]
	v_fma_f64 v[179:180], v[56:57], s[16:17], v[187:188]
	v_fma_f64 v[181:182], v[56:57], s[16:17], -v[187:188]
	v_mul_f64 v[201:202], v[126:127], s[38:39]
	v_mul_f64 v[221:222], v[126:127], s[48:49]
	v_fma_f64 v[185:186], v[52:53], s[16:17], v[191:192]
	v_fma_f64 v[187:188], v[52:53], s[16:17], -v[191:192]
	v_fma_f64 v[191:192], v[52:53], s[14:15], -v[193:194]
	v_fma_f64 v[231:232], v[52:53], s[12:13], v[197:198]
	v_fma_f64 v[197:198], v[52:53], s[12:13], -v[197:198]
	v_mul_f64 v[199:200], v[126:127], s[34:35]
	v_mul_f64 v[223:224], v[126:127], s[56:57]
	;; [unrolled: 1-line block ×3, first 2 shown]
	v_add_f64 v[30:31], v[30:31], v[34:35]
	v_add_f64 v[42:43], v[6:7], v[42:43]
	v_fma_f64 v[34:35], v[56:57], s[12:13], v[189:190]
	v_fma_f64 v[189:190], v[52:53], s[14:15], v[193:194]
	v_add_f64 v[50:51], v[92:93], v[50:51]
	v_add_f64 v[66:67], v[94:95], v[66:67]
	v_fma_f64 v[193:194], v[52:53], s[22:23], v[195:196]
	v_fma_f64 v[195:196], v[52:53], s[22:23], -v[195:196]
	v_mul_f64 v[126:127], v[126:127], s[44:45]
	v_add_f64 v[118:119], v[132:133], v[118:119]
	v_mul_f64 v[54:55], v[128:129], s[38:39]
	v_mul_f64 v[209:210], v[128:129], s[24:25]
	v_mul_f64 v[128:129], v[128:129], s[26:27]
	v_fma_f64 v[235:236], v[48:49], s[30:31], v[201:202]
	v_fma_f64 v[201:202], v[48:49], s[30:31], -v[201:202]
	v_mul_f64 v[211:212], v[130:131], s[20:21]
	v_mul_f64 v[213:214], v[130:131], s[40:41]
	;; [unrolled: 1-line block ×4, first 2 shown]
	v_fma_f64 v[233:234], v[48:49], s[0:1], v[199:200]
	v_fma_f64 v[199:200], v[48:49], s[0:1], -v[199:200]
	v_mul_f64 v[229:230], v[130:131], s[52:53]
	v_add_f64 v[22:23], v[22:23], v[30:31]
	v_fma_f64 v[30:31], v[60:61], s[0:1], -v[116:117]
	v_add_f64 v[60:61], v[6:7], v[120:121]
	v_add_f64 v[116:117], v[6:7], v[134:135]
	;; [unrolled: 1-line block ×10, first 2 shown]
	v_fma_f64 v[64:65], v[24:25], s[22:23], -v[203:204]
	v_fma_f64 v[146:147], v[24:25], s[0:1], v[205:206]
	v_fma_f64 v[148:149], v[24:25], s[0:1], -v[205:206]
	v_fma_f64 v[203:204], v[24:25], s[18:19], v[207:208]
	;; [unrolled: 2-line block ×3, first 2 shown]
	v_add_f64 v[42:43], v[165:166], v[42:43]
	v_add_f64 v[118:119], v[167:168], v[118:119]
	;; [unrolled: 1-line block ×3, first 2 shown]
	v_fma_f64 v[108:109], v[48:49], s[22:23], -v[221:222]
	v_add_f64 v[22:23], v[46:47], v[22:23]
	v_fma_f64 v[46:47], v[56:57], s[14:15], -v[122:123]
	v_add_f64 v[56:57], v[150:151], v[60:61]
	v_add_f64 v[60:61], v[152:153], v[116:117]
	;; [unrolled: 1-line block ×10, first 2 shown]
	v_fma_f64 v[136:137], v[52:53], s[30:31], v[219:220]
	v_fma_f64 v[138:139], v[52:53], s[30:31], -v[219:220]
	v_fma_f64 v[140:141], v[52:53], s[18:19], v[124:125]
	v_fma_f64 v[52:53], v[52:53], s[18:19], -v[124:125]
	v_fma_f64 v[124:125], v[48:49], s[18:19], v[225:226]
	v_fma_f64 v[142:143], v[48:49], s[16:17], v[126:127]
	v_add_f64 v[42:43], v[177:178], v[42:43]
	v_add_f64 v[118:119], v[185:186], v[118:119]
	;; [unrolled: 1-line block ×3, first 2 shown]
	v_mul_f64 v[130:131], v[130:131], s[48:49]
	v_add_f64 v[22:23], v[38:39], v[22:23]
	v_fma_f64 v[38:39], v[48:49], s[22:23], v[221:222]
	v_add_f64 v[56:57], v[169:170], v[56:57]
	v_add_f64 v[60:61], v[171:172], v[60:61]
	;; [unrolled: 1-line block ×11, first 2 shown]
	v_fma_f64 v[110:111], v[48:49], s[12:13], v[223:224]
	v_fma_f64 v[122:123], v[48:49], s[12:13], -v[223:224]
	v_fma_f64 v[132:133], v[48:49], s[18:19], -v[225:226]
	v_fma_f64 v[237:238], v[24:25], s[30:31], v[54:55]
	v_fma_f64 v[54:55], v[24:25], s[30:31], -v[54:55]
	v_add_f64 v[42:43], v[197:198], v[42:43]
	v_fma_f64 v[30:31], v[24:25], s[14:15], v[209:210]
	v_fma_f64 v[134:135], v[24:25], s[14:15], -v[209:210]
	v_add_f64 v[36:37], v[36:37], v[50:51]
	v_add_f64 v[22:23], v[26:27], v[22:23]
	v_fma_f64 v[26:27], v[48:49], s[16:17], -v[126:127]
	v_add_f64 v[48:49], v[187:188], v[56:57]
	v_add_f64 v[56:57], v[189:190], v[60:61]
	;; [unrolled: 1-line block ×12, first 2 shown]
	v_fma_f64 v[136:137], v[24:25], s[10:11], v[128:129]
	v_fma_f64 v[52:53], v[16:17], s[12:13], v[211:212]
	v_fma_f64 v[112:113], v[16:17], s[12:13], -v[211:212]
	v_fma_f64 v[114:115], v[16:17], s[16:17], v[213:214]
	v_fma_f64 v[120:121], v[16:17], s[16:17], -v[213:214]
	v_fma_f64 v[126:127], v[16:17], s[14:15], v[215:216]
	v_mul_f64 v[62:63], v[0:1], s[6:7]
	v_add_f64 v[32:33], v[32:33], v[36:37]
	v_add_f64 v[18:19], v[18:19], v[22:23]
	v_fma_f64 v[22:23], v[24:25], s[10:11], -v[128:129]
	v_add_f64 v[24:25], v[108:109], v[48:49]
	v_add_f64 v[48:49], v[110:111], v[56:57]
	;; [unrolled: 1-line block ×12, first 2 shown]
	v_fma_f64 v[66:67], v[16:17], s[14:15], -v[215:216]
	v_fma_f64 v[92:93], v[16:17], s[10:11], v[227:228]
	v_fma_f64 v[94:95], v[16:17], s[10:11], -v[227:228]
	v_fma_f64 v[108:109], v[16:17], s[18:19], v[229:230]
	;; [unrolled: 2-line block ×3, first 2 shown]
	v_add_f64 v[38:39], v[237:238], v[38:39]
	v_fma_f64 v[16:17], v[16:17], s[22:23], -v[130:131]
	v_add_f64 v[14:15], v[14:15], v[18:19]
	v_add_f64 v[20:21], v[20:21], v[32:33]
	;; [unrolled: 1-line block ×6, first 2 shown]
	v_mul_f64 v[56:57], v[0:1], s[4:5]
	v_add_f64 v[36:37], v[44:45], v[40:41]
	v_add_f64 v[40:41], v[203:204], v[50:51]
	;; [unrolled: 1-line block ×5, first 2 shown]
	v_mul_f64 v[22:23], v[12:13], s[24:25]
	v_mul_f64 v[44:45], v[12:13], s[28:29]
	;; [unrolled: 1-line block ×3, first 2 shown]
	v_add_f64 v[26:27], v[205:206], v[26:27]
	v_mul_f64 v[58:59], v[12:13], s[26:27]
	v_mul_f64 v[60:61], v[12:13], s[48:49]
	v_add_f64 v[34:35], v[136:137], v[34:35]
	v_mul_f64 v[12:13], v[12:13], s[44:45]
	v_add_f64 v[46:47], v[148:149], v[46:47]
	v_add_f64 v[38:39], v[52:53], v[38:39]
	v_add_f64 v[10:11], v[10:11], v[14:15]
	v_add_f64 v[4:5], v[62:63], v[4:5]
	v_add_f64 v[14:15], v[112:113], v[18:19]
	v_add_f64 v[18:19], v[92:93], v[24:25]
	v_add_f64 v[24:25], v[94:95], v[48:49]
	v_add_f64 v[48:49], v[114:115], v[54:55]
	v_add_f64 v[8:9], v[56:57], v[8:9]
	v_add_f64 v[28:29], v[28:29], v[36:37]
	v_add_f64 v[32:33], v[126:127], v[40:41]
	v_add_f64 v[30:31], v[108:109], v[30:31]
	v_add_f64 v[36:37], v[110:111], v[42:43]
	v_add_f64 v[6:7], v[16:17], v[6:7]
	v_fma_f64 v[16:17], v[0:1], s[14:15], v[22:23]
	v_fma_f64 v[40:41], v[0:1], s[0:1], v[44:45]
	;; [unrolled: 1-line block ×3, first 2 shown]
	v_add_f64 v[26:27], v[66:67], v[26:27]
	v_fma_f64 v[52:53], v[0:1], s[10:11], v[58:59]
	v_fma_f64 v[54:55], v[0:1], s[10:11], -v[58:59]
	v_fma_f64 v[56:57], v[0:1], s[22:23], v[60:61]
	v_add_f64 v[34:35], v[116:117], v[34:35]
	v_fma_f64 v[58:59], v[0:1], s[16:17], v[12:13]
	v_fma_f64 v[12:13], v[0:1], s[16:17], -v[12:13]
	v_fma_f64 v[60:61], v[0:1], s[22:23], -v[60:61]
	v_add_f64 v[46:47], v[120:121], v[46:47]
	v_fma_f64 v[44:45], v[0:1], s[0:1], -v[44:45]
	v_fma_f64 v[50:51], v[0:1], s[12:13], -v[50:51]
	;; [unrolled: 1-line block ×3, first 2 shown]
	v_add_f64 v[2:3], v[2:3], v[10:11]
	v_add_f64 v[4:5], v[4:5], v[20:21]
	v_add_f64 v[8:9], v[8:9], v[28:29]
	v_add_f64 v[10:11], v[16:17], v[38:39]
	v_add_f64 v[16:17], v[40:41], v[18:19]
	v_add_f64 v[18:19], v[42:43], v[48:49]
	v_add_f64 v[20:21], v[52:53], v[32:33]
	v_add_f64 v[22:23], v[54:55], v[26:27]
	v_add_f64 v[26:27], v[56:57], v[30:31]
	v_add_f64 v[28:29], v[58:59], v[34:35]
	v_add_f64 v[6:7], v[12:13], v[6:7]
	v_add_f64 v[12:13], v[60:61], v[36:37]
	v_add_f64 v[24:25], v[44:45], v[24:25]
	v_add_f64 v[30:31], v[50:51], v[46:47]
	v_add_f64 v[0:1], v[0:1], v[14:15]
	v_lshl_add_u32 v14, v96, 7, v160
	ds_write2_b64 v14, v[2:3], v[10:11] offset1:1
	ds_write2_b64 v14, v[16:17], v[18:19] offset0:2 offset1:3
	ds_write2_b64 v14, v[4:5], v[8:9] offset0:4 offset1:5
	;; [unrolled: 1-line block ×7, first 2 shown]
	ds_write_b64 v14, v[0:1] offset:128
.LBB0_15:
	s_or_b32 exec_lo, exec_lo, s33
	v_add_nc_u32_e32 v108, 0x77, v96
	v_and_b32_e32 v0, 0xff, v96
	v_add_nc_u32_e32 v1, 0xee, v96
	v_mov_b32_e32 v4, 0xf0f1
	v_add_nc_u32_e32 v2, 0x165, v96
	v_and_b32_e32 v5, 0xff, v108
	v_mul_lo_u16 v110, 0xf1, v0
	v_add_nc_u32_e32 v3, 0x1dc, v96
	v_add_nc_u32_e32 v0, 0x253, v96
	v_mul_u32_u24_sdwa v7, v1, v4 dst_sel:DWORD dst_unused:UNUSED_PAD src0_sel:WORD_0 src1_sel:DWORD
	v_mul_lo_u16 v109, 0xf1, v5
	v_lshrrev_b16 v34, 12, v110
	v_mul_u32_u24_sdwa v9, v2, v4 dst_sel:DWORD dst_unused:UNUSED_PAD src0_sel:WORD_0 src1_sel:DWORD
	v_mul_u32_u24_sdwa v5, v3, v4 dst_sel:DWORD dst_unused:UNUSED_PAD src0_sel:WORD_0 src1_sel:DWORD
	v_mul_u32_u24_sdwa v4, v0, v4 dst_sel:DWORD dst_unused:UNUSED_PAD src0_sel:WORD_0 src1_sel:DWORD
	v_lshrrev_b16 v113, 12, v109
	v_lshrrev_b32_e32 v35, 20, v7
	v_mul_lo_u16 v8, v34, 17
	v_lshrrev_b32_e32 v36, 20, v9
	v_lshrrev_b32_e32 v37, 20, v5
	;; [unrolled: 1-line block ×3, first 2 shown]
	v_mul_lo_u16 v4, v113, 17
	v_mul_lo_u16 v7, v35, 17
	v_sub_nc_u16 v112, v96, v8
	v_mul_lo_u16 v8, v36, 17
	v_mul_lo_u16 v9, v37, 17
	v_mov_b32_e32 v6, 4
	v_mul_lo_u16 v10, v38, 17
	v_sub_nc_u16 v114, v108, v4
	v_sub_nc_u16 v115, v1, v7
	;; [unrolled: 1-line block ×4, first 2 shown]
	v_lshlrev_b32_sdwa v5, v6, v112 dst_sel:DWORD dst_unused:UNUSED_PAD src0_sel:DWORD src1_sel:BYTE_0
	v_sub_nc_u16 v118, v0, v10
	v_lshlrev_b32_sdwa v0, v6, v114 dst_sel:DWORD dst_unused:UNUSED_PAD src0_sel:DWORD src1_sel:BYTE_0
	v_lshlrev_b32_sdwa v1, v6, v115 dst_sel:DWORD dst_unused:UNUSED_PAD src0_sel:DWORD src1_sel:WORD_0
	v_lshlrev_b32_sdwa v2, v6, v116 dst_sel:DWORD dst_unused:UNUSED_PAD src0_sel:DWORD src1_sel:WORD_0
	;; [unrolled: 1-line block ×3, first 2 shown]
	s_waitcnt lgkmcnt(0)
	s_barrier
	buffer_gl0_inv
	v_lshlrev_b32_sdwa v8, v6, v118 dst_sel:DWORD dst_unused:UNUSED_PAD src0_sel:DWORD src1_sel:WORD_0
	s_clause 0x5
	global_load_dwordx4 v[4:7], v5, s[8:9]
	global_load_dwordx4 v[16:19], v0, s[8:9]
	;; [unrolled: 1-line block ×6, first 2 shown]
	ds_read2_b64 v[56:59], v162 offset0:74 offset1:193
	ds_read2_b64 v[52:55], v163 offset0:56 offset1:175
	;; [unrolled: 1-line block ×3, first 2 shown]
	v_mov_b32_e32 v119, 0x110
	v_mul_u32_u24_e32 v122, 0x110, v35
	v_mul_u32_u24_e32 v123, 0x110, v36
	;; [unrolled: 1-line block ×3, first 2 shown]
	v_mov_b32_e32 v120, 3
	v_mul_u32_u24_sdwa v121, v34, v119 dst_sel:DWORD dst_unused:UNUSED_PAD src0_sel:WORD_0 src1_sel:DWORD
	v_mul_u32_u24_e32 v125, 0x110, v38
	v_add_nc_u32_e32 v111, 0x1800, v160
	ds_read2_b64 v[60:63], v160 offset1:119
	ds_read2_b64 v[92:95], v161 offset0:110 offset1:229
	ds_read2_b64 v[64:67], v97 offset0:92 offset1:211
	s_waitcnt vmcnt(0) lgkmcnt(0)
	s_barrier
	buffer_gl0_inv
	v_cmp_gt_u32_e64 s0, 0x55, v96
	v_mul_f64 v[0:1], v[56:57], v[6:7]
	v_mul_f64 v[2:3], v[58:59], v[18:19]
	;; [unrolled: 1-line block ×6, first 2 shown]
	v_fma_f64 v[0:1], v[68:69], v[4:5], -v[0:1]
	v_fma_f64 v[2:3], v[70:71], v[16:17], -v[2:3]
	;; [unrolled: 1-line block ×6, first 2 shown]
	v_add_f64 v[20:21], v[80:81], -v[0:1]
	v_add_f64 v[22:23], v[82:83], -v[2:3]
	;; [unrolled: 1-line block ×6, first 2 shown]
	v_fma_f64 v[10:11], v[80:81], 2.0, -v[20:21]
	v_fma_f64 v[34:35], v[82:83], 2.0, -v[22:23]
	;; [unrolled: 1-line block ×6, first 2 shown]
	v_lshlrev_b32_sdwa v81, v120, v112 dst_sel:DWORD dst_unused:UNUSED_PAD src0_sel:DWORD src1_sel:BYTE_0
	v_mul_u32_u24_sdwa v80, v113, v119 dst_sel:DWORD dst_unused:UNUSED_PAD src0_sel:WORD_0 src1_sel:DWORD
	v_lshlrev_b32_sdwa v83, v120, v115 dst_sel:DWORD dst_unused:UNUSED_PAD src0_sel:DWORD src1_sel:WORD_0
	v_lshlrev_b32_sdwa v84, v120, v116 dst_sel:DWORD dst_unused:UNUSED_PAD src0_sel:DWORD src1_sel:WORD_0
	;; [unrolled: 1-line block ×3, first 2 shown]
	v_add3_u32 v82, 0, v121, v81
	v_lshlrev_b32_sdwa v81, v120, v114 dst_sel:DWORD dst_unused:UNUSED_PAD src0_sel:DWORD src1_sel:BYTE_0
	v_lshlrev_b32_sdwa v86, v120, v118 dst_sel:DWORD dst_unused:UNUSED_PAD src0_sel:DWORD src1_sel:WORD_0
	v_add3_u32 v83, 0, v122, v83
	v_add3_u32 v84, 0, v123, v84
	;; [unrolled: 1-line block ×5, first 2 shown]
	ds_write2_b64 v82, v[10:11], v[20:21] offset1:17
	ds_write2_b64 v87, v[34:35], v[22:23] offset1:17
	;; [unrolled: 1-line block ×6, first 2 shown]
	s_waitcnt lgkmcnt(0)
	s_barrier
	buffer_gl0_inv
	ds_read2_b64 v[20:23], v160 offset1:204
	ds_read2_b64 v[36:39], v97 offset0:24 offset1:228
	ds_read2_b64 v[32:35], v111 offset0:48 offset1:252
	ds_read_b64 v[80:81], v160 offset:9792
	s_and_saveexec_b32 s1, s0
	s_cbranch_execz .LBB0_17
; %bb.16:
	v_add_nc_u32_e32 v0, 0x1c00, v160
	v_add_nc_u32_e32 v1, 0x300, v160
	;; [unrolled: 1-line block ×3, first 2 shown]
	ds_read2_b64 v[8:11], v0 offset0:39 offset1:243
	ds_read2_b64 v[0:3], v1 offset0:23 offset1:227
	;; [unrolled: 1-line block ×3, first 2 shown]
	ds_read_b64 v[100:101], v160 offset:10744
	s_waitcnt lgkmcnt(3)
	v_mov_b32_e32 v103, v11
	v_mov_b32_e32 v102, v10
.LBB0_17:
	s_or_b32 exec_lo, exec_lo, s1
	v_mul_f64 v[6:7], v[68:69], v[6:7]
	v_mul_f64 v[10:11], v[70:71], v[18:19]
	;; [unrolled: 1-line block ×6, first 2 shown]
	v_add_nc_u32_e32 v46, 0xc00, v160
	s_waitcnt lgkmcnt(0)
	s_barrier
	buffer_gl0_inv
	v_fma_f64 v[4:5], v[56:57], v[4:5], v[6:7]
	v_fma_f64 v[6:7], v[58:59], v[16:17], v[10:11]
	;; [unrolled: 1-line block ×6, first 2 shown]
	v_add_f64 v[26:27], v[60:61], -v[4:5]
	v_add_f64 v[40:41], v[62:63], -v[6:7]
	;; [unrolled: 1-line block ×6, first 2 shown]
	v_fma_f64 v[16:17], v[60:61], 2.0, -v[26:27]
	v_fma_f64 v[18:19], v[62:63], 2.0, -v[40:41]
	;; [unrolled: 1-line block ×6, first 2 shown]
	ds_write2_b64 v82, v[16:17], v[26:27] offset1:17
	ds_write2_b64 v87, v[18:19], v[40:41] offset1:17
	;; [unrolled: 1-line block ×6, first 2 shown]
	s_waitcnt lgkmcnt(0)
	s_barrier
	buffer_gl0_inv
	ds_read2_b64 v[16:19], v160 offset1:204
	ds_read2_b64 v[44:47], v46 offset0:24 offset1:228
	ds_read2_b64 v[40:43], v111 offset0:48 offset1:252
	ds_read_b64 v[48:49], v160 offset:9792
	s_and_saveexec_b32 s1, s0
	s_cbranch_execz .LBB0_19
; %bb.18:
	v_add_nc_u32_e32 v4, 0x1c00, v160
	v_add_nc_u32_e32 v5, 0x300, v160
	;; [unrolled: 1-line block ×3, first 2 shown]
	ds_read2_b64 v[24:27], v4 offset0:39 offset1:243
	ds_read2_b64 v[4:7], v5 offset0:23 offset1:227
	;; [unrolled: 1-line block ×3, first 2 shown]
	ds_read_b64 v[104:105], v160 offset:10744
	s_waitcnt lgkmcnt(3)
	v_mov_b32_e32 v107, v27
	v_mov_b32_e32 v106, v26
.LBB0_19:
	s_or_b32 exec_lo, exec_lo, s1
	v_lshrrev_b16 v97, 13, v110
	v_mov_b32_e32 v11, 6
	v_lshrrev_b16 v68, 13, v109
	s_mov_b32 s4, 0x37e14327
	s_mov_b32 s10, 0xe976ee23
	v_mul_lo_u16 v10, v97, 34
	s_mov_b32 s5, 0x3fe948f6
	s_mov_b32 s11, 0xbfe11646
	;; [unrolled: 1-line block ×4, first 2 shown]
	v_sub_nc_u16 v127, v96, v10
	s_mov_b32 s7, 0x3febfeb5
	s_mov_b32 s13, 0x3fac98ee
	;; [unrolled: 1-line block ×4, first 2 shown]
	v_mul_u32_u24_sdwa v10, v127, v11 dst_sel:DWORD dst_unused:UNUSED_PAD src0_sel:BYTE_0 src1_sel:DWORD
	s_mov_b32 s15, 0xbff2aaaa
	s_mov_b32 s16, 0x5476071b
	;; [unrolled: 1-line block ×4, first 2 shown]
	v_lshlrev_b32_e32 v10, 4, v10
	s_mov_b32 s19, 0xbfe77f67
	s_mov_b32 s23, 0xbfd5d0dc
	;; [unrolled: 1-line block ×4, first 2 shown]
	s_clause 0x5
	global_load_dwordx4 v[50:53], v10, s[8:9] offset:272
	global_load_dwordx4 v[54:57], v10, s[8:9] offset:288
	;; [unrolled: 1-line block ×6, first 2 shown]
	v_mul_lo_u16 v10, v68, 34
	s_mov_b32 s24, 0x37c3f68c
	s_mov_b32 s25, 0x3fdc38aa
	v_sub_nc_u16 v69, v108, v10
	v_mul_u32_u24_sdwa v10, v69, v11 dst_sel:DWORD dst_unused:UNUSED_PAD src0_sel:BYTE_0 src1_sel:DWORD
	v_lshlrev_b32_e32 v10, 4, v10
	s_clause 0x5
	global_load_dwordx4 v[82:85], v10, s[8:9] offset:272
	global_load_dwordx4 v[86:89], v10, s[8:9] offset:288
	;; [unrolled: 1-line block ×6, first 2 shown]
	s_waitcnt vmcnt(0) lgkmcnt(0)
	s_barrier
	buffer_gl0_inv
	v_mul_f64 v[10:11], v[18:19], v[52:53]
	v_mul_f64 v[26:27], v[44:45], v[56:57]
	v_mul_f64 v[66:67], v[48:49], v[60:61]
	v_mul_f64 v[78:79], v[42:43], v[64:65]
	v_mul_f64 v[52:53], v[22:23], v[52:53]
	v_mul_f64 v[56:57], v[36:37], v[56:57]
	v_mul_f64 v[94:95], v[46:47], v[72:73]
	v_mul_f64 v[72:73], v[38:39], v[72:73]
	v_mul_f64 v[121:122], v[40:41], v[76:77]
	v_mul_f64 v[64:65], v[34:35], v[64:65]
	v_mul_f64 v[76:77], v[32:33], v[76:77]
	v_mul_f64 v[60:61], v[80:81], v[60:61]
	v_fma_f64 v[10:11], v[22:23], v[50:51], -v[10:11]
	v_fma_f64 v[26:27], v[36:37], v[54:55], -v[26:27]
	v_fma_f64 v[22:23], v[80:81], v[58:59], -v[66:67]
	v_fma_f64 v[36:37], v[34:35], v[62:63], -v[78:79]
	v_fma_f64 v[18:19], v[18:19], v[50:51], v[52:53]
	v_fma_f64 v[44:45], v[44:45], v[54:55], v[56:57]
	v_fma_f64 v[34:35], v[38:39], v[70:71], -v[94:95]
	v_fma_f64 v[38:39], v[46:47], v[70:71], v[72:73]
	v_fma_f64 v[32:33], v[32:33], v[74:75], -v[121:122]
	v_fma_f64 v[42:43], v[42:43], v[62:63], v[64:65]
	v_fma_f64 v[40:41], v[40:41], v[74:75], v[76:77]
	v_fma_f64 v[46:47], v[48:49], v[58:59], v[60:61]
	v_mul_f64 v[72:73], v[12:13], v[88:89]
	v_mul_f64 v[74:75], v[30:31], v[92:93]
	;; [unrolled: 1-line block ×7, first 2 shown]
	v_add_f64 v[48:49], v[10:11], v[22:23]
	v_add_f64 v[50:51], v[26:27], v[36:37]
	;; [unrolled: 1-line block ×3, first 2 shown]
	v_add_f64 v[52:53], v[44:45], -v[42:43]
	v_add_f64 v[56:57], v[40:41], -v[38:39]
	;; [unrolled: 1-line block ×3, first 2 shown]
	v_add_f64 v[60:61], v[50:51], v[48:49]
	v_add_f64 v[62:63], v[48:49], -v[54:55]
	v_add_f64 v[48:49], v[50:51], -v[48:49]
	;; [unrolled: 1-line block ×4, first 2 shown]
	v_add_f64 v[52:53], v[56:57], v[52:53]
	v_add_f64 v[56:57], v[58:59], -v[56:57]
	v_add_f64 v[60:61], v[54:55], v[60:61]
	v_add_f64 v[54:55], v[54:55], -v[50:51]
	v_mul_f64 v[62:63], v[62:63], s[4:5]
	v_mul_f64 v[64:65], v[64:65], s[10:11]
	;; [unrolled: 1-line block ×3, first 2 shown]
	v_add_f64 v[52:53], v[52:53], v[58:59]
	v_add_f64 v[20:21], v[20:21], v[60:61]
	v_mul_f64 v[50:51], v[54:55], s[12:13]
	v_fma_f64 v[54:55], v[54:55], s[12:13], v[62:63]
	v_fma_f64 v[62:63], v[48:49], s[18:19], -v[62:63]
	v_fma_f64 v[58:59], v[56:57], s[20:21], v[64:65]
	v_fma_f64 v[64:65], v[66:67], s[6:7], -v[64:65]
	v_fma_f64 v[56:57], v[56:57], s[22:23], -v[70:71]
	v_mul_f64 v[66:67], v[2:3], v[84:85]
	v_mul_f64 v[70:71], v[28:29], v[88:89]
	;; [unrolled: 1-line block ×3, first 2 shown]
	v_fma_f64 v[60:61], v[60:61], s[14:15], v[20:21]
	v_fma_f64 v[48:49], v[48:49], s[16:17], -v[50:51]
	v_mul_f64 v[50:51], v[6:7], v[84:85]
	v_mul_f64 v[84:85], v[106:107], v[115:116]
	v_fma_f64 v[94:95], v[52:53], s[24:25], v[58:59]
	v_fma_f64 v[111:112], v[52:53], s[24:25], v[64:65]
	v_fma_f64 v[115:116], v[52:53], s[24:25], v[56:57]
	v_fma_f64 v[52:53], v[6:7], v[82:83], v[66:67]
	v_fma_f64 v[56:57], v[30:31], v[90:91], v[76:77]
	v_fma_f64 v[30:31], v[8:9], v[109:110], -v[78:79]
	v_fma_f64 v[58:59], v[24:25], v[109:110], v[80:81]
	v_fma_f64 v[64:65], v[106:107], v[113:114], v[88:89]
	;; [unrolled: 1-line block ×3, first 2 shown]
	v_add_f64 v[121:122], v[54:55], v[60:61]
	v_add_f64 v[123:124], v[62:63], v[60:61]
	;; [unrolled: 1-line block ×3, first 2 shown]
	v_fma_f64 v[48:49], v[2:3], v[82:83], -v[50:51]
	v_fma_f64 v[50:51], v[12:13], v[86:87], -v[70:71]
	v_fma_f64 v[54:55], v[28:29], v[86:87], v[72:73]
	v_fma_f64 v[28:29], v[14:15], v[90:91], -v[74:75]
	v_fma_f64 v[60:61], v[102:103], v[113:114], -v[84:85]
	;; [unrolled: 1-line block ×3, first 2 shown]
	v_mov_b32_e32 v2, 0x770
	v_mov_b32_e32 v3, 3
	v_mul_u32_u24_sdwa v70, v97, v2 dst_sel:DWORD dst_unused:UNUSED_PAD src0_sel:WORD_0 src1_sel:DWORD
	v_lshlrev_b32_sdwa v73, v3, v127 dst_sel:DWORD dst_unused:UNUSED_PAD src0_sel:DWORD src1_sel:BYTE_0
	v_add3_u32 v70, 0, v70, v73
	v_add_f64 v[6:7], v[94:95], v[121:122]
	v_add_f64 v[8:9], v[115:116], v[123:124]
	v_add_f64 v[12:13], v[125:126], -v[111:112]
	v_add_f64 v[14:15], v[111:112], v[125:126]
	v_add_f64 v[24:25], v[123:124], -v[115:116]
	v_add_f64 v[71:72], v[121:122], -v[94:95]
	ds_write2_b64 v70, v[20:21], v[6:7] offset1:34
	ds_write2_b64 v70, v[8:9], v[12:13] offset0:68 offset1:102
	ds_write2_b64 v70, v[14:15], v[24:25] offset0:136 offset1:170
	ds_write_b64 v70, v[71:72] offset:1632
	s_and_saveexec_b32 s1, s0
	s_cbranch_execz .LBB0_21
; %bb.20:
	v_add_f64 v[6:7], v[50:51], v[60:61]
	v_add_f64 v[8:9], v[48:49], v[62:63]
	v_add_f64 v[12:13], v[58:59], -v[56:57]
	v_add_f64 v[14:15], v[54:55], -v[64:65]
	v_add_f64 v[20:21], v[28:29], v[30:31]
	v_add_f64 v[24:25], v[52:53], -v[66:67]
	v_mul_u32_u24_sdwa v2, v68, v2 dst_sel:DWORD dst_unused:UNUSED_PAD src0_sel:WORD_0 src1_sel:DWORD
	v_lshlrev_b32_sdwa v3, v3, v69 dst_sel:DWORD dst_unused:UNUSED_PAD src0_sel:DWORD src1_sel:BYTE_0
	v_add3_u32 v2, 0, v2, v3
	v_add_f64 v[71:72], v[6:7], v[8:9]
	v_add_f64 v[73:74], v[12:13], -v[14:15]
	v_add_f64 v[75:76], v[8:9], -v[20:21]
	;; [unrolled: 1-line block ×3, first 2 shown]
	v_add_f64 v[14:15], v[12:13], v[14:15]
	v_add_f64 v[12:13], v[24:25], -v[12:13]
	v_add_f64 v[71:72], v[20:21], v[71:72]
	v_add_f64 v[20:21], v[20:21], -v[6:7]
	v_add_f64 v[6:7], v[6:7], -v[8:9]
	v_mul_f64 v[8:9], v[73:74], s[10:11]
	v_mul_f64 v[73:74], v[75:76], s[4:5]
	v_mul_f64 v[75:76], v[77:78], s[6:7]
	v_add_f64 v[14:15], v[14:15], v[24:25]
	v_add_f64 v[0:1], v[0:1], v[71:72]
	v_mul_f64 v[79:80], v[20:21], s[12:13]
	v_fma_f64 v[24:25], v[12:13], s[20:21], v[8:9]
	v_fma_f64 v[20:21], v[20:21], s[12:13], v[73:74]
	v_fma_f64 v[81:82], v[6:7], s[18:19], -v[73:74]
	v_fma_f64 v[12:13], v[12:13], s[22:23], -v[75:76]
	;; [unrolled: 1-line block ×3, first 2 shown]
	v_fma_f64 v[71:72], v[71:72], s[14:15], v[0:1]
	v_fma_f64 v[6:7], v[6:7], s[16:17], -v[79:80]
	v_fma_f64 v[24:25], v[14:15], s[24:25], v[24:25]
	v_fma_f64 v[12:13], v[14:15], s[24:25], v[12:13]
	;; [unrolled: 1-line block ×3, first 2 shown]
	v_add_f64 v[20:21], v[20:21], v[71:72]
	v_add_f64 v[14:15], v[81:82], v[71:72]
	;; [unrolled: 1-line block ×4, first 2 shown]
	v_add_f64 v[71:72], v[14:15], -v[12:13]
	v_add_f64 v[73:74], v[6:7], -v[8:9]
	v_add_f64 v[12:13], v[12:13], v[14:15]
	v_add_f64 v[6:7], v[8:9], v[6:7]
	v_add_f64 v[8:9], v[20:21], -v[24:25]
	ds_write2_b64 v2, v[0:1], v[75:76] offset1:34
	ds_write2_b64 v2, v[12:13], v[73:74] offset0:68 offset1:102
	ds_write2_b64 v2, v[6:7], v[71:72] offset0:136 offset1:170
	ds_write_b64 v2, v[8:9] offset:1632
.LBB0_21:
	s_or_b32 exec_lo, exec_lo, s1
	v_add_f64 v[0:1], v[18:19], v[46:47]
	v_add_f64 v[2:3], v[44:45], v[42:43]
	v_add_f64 v[6:7], v[26:27], -v[36:37]
	v_add_f64 v[8:9], v[38:39], v[40:41]
	v_add_f64 v[12:13], v[32:33], -v[34:35]
	v_add_f64 v[10:11], v[10:11], -v[22:23]
	v_add_nc_u32_e32 v44, 0x1400, v160
	v_add_nc_u32_e32 v45, 0x1c00, v160
	;; [unrolled: 1-line block ×3, first 2 shown]
	s_waitcnt lgkmcnt(0)
	s_barrier
	buffer_gl0_inv
	v_add_f64 v[14:15], v[2:3], v[0:1]
	v_add_f64 v[18:19], v[0:1], -v[8:9]
	v_add_f64 v[20:21], v[12:13], -v[6:7]
	;; [unrolled: 1-line block ×3, first 2 shown]
	v_add_f64 v[6:7], v[12:13], v[6:7]
	v_add_f64 v[12:13], v[10:11], -v[12:13]
	v_add_f64 v[0:1], v[2:3], -v[0:1]
	v_add_f64 v[14:15], v[8:9], v[14:15]
	v_add_f64 v[8:9], v[8:9], -v[2:3]
	v_mul_f64 v[18:19], v[18:19], s[4:5]
	v_mul_f64 v[20:21], v[20:21], s[10:11]
	;; [unrolled: 1-line block ×3, first 2 shown]
	v_add_f64 v[6:7], v[6:7], v[10:11]
	v_add_f64 v[26:27], v[16:17], v[14:15]
	v_mul_f64 v[2:3], v[8:9], s[12:13]
	v_fma_f64 v[8:9], v[8:9], s[12:13], v[18:19]
	v_fma_f64 v[10:11], v[12:13], s[20:21], v[20:21]
	v_fma_f64 v[16:17], v[22:23], s[6:7], -v[20:21]
	v_fma_f64 v[12:13], v[12:13], s[22:23], -v[24:25]
	;; [unrolled: 1-line block ×3, first 2 shown]
	v_fma_f64 v[14:15], v[14:15], s[14:15], v[26:27]
	v_fma_f64 v[0:1], v[0:1], s[16:17], -v[2:3]
	v_fma_f64 v[10:11], v[6:7], s[24:25], v[10:11]
	v_fma_f64 v[20:21], v[6:7], s[24:25], v[16:17]
	;; [unrolled: 1-line block ×3, first 2 shown]
	v_add_nc_u32_e32 v6, 0x400, v160
	v_add_nc_u32_e32 v7, 0xc00, v160
	v_add_f64 v[22:23], v[8:9], v[14:15]
	v_add_f64 v[18:19], v[18:19], v[14:15]
	;; [unrolled: 1-line block ×3, first 2 shown]
	ds_read2_b64 v[0:3], v160 offset1:119
	ds_read2_b64 v[14:17], v6 offset0:110 offset1:229
	ds_read2_b64 v[6:9], v7 offset0:92 offset1:211
	v_add_f64 v[32:33], v[22:23], -v[10:11]
	v_add_f64 v[34:35], v[18:19], -v[12:13]
	v_add_f64 v[36:37], v[20:21], v[24:25]
	v_add_f64 v[38:39], v[24:25], -v[20:21]
	v_add_f64 v[40:41], v[12:13], v[18:19]
	v_add_f64 v[42:43], v[10:11], v[22:23]
	ds_read2_b64 v[18:21], v44 offset0:74 offset1:193
	ds_read2_b64 v[10:13], v45 offset0:56 offset1:175
	;; [unrolled: 1-line block ×3, first 2 shown]
	s_waitcnt lgkmcnt(0)
	s_barrier
	buffer_gl0_inv
	ds_write2_b64 v70, v[26:27], v[32:33] offset1:34
	ds_write2_b64 v70, v[34:35], v[36:37] offset0:68 offset1:102
	ds_write2_b64 v70, v[38:39], v[40:41] offset0:136 offset1:170
	ds_write_b64 v70, v[42:43] offset:1632
	s_and_saveexec_b32 s1, s0
	s_cbranch_execz .LBB0_23
; %bb.22:
	v_add_f64 v[26:27], v[52:53], v[66:67]
	v_add_f64 v[32:33], v[54:55], v[64:65]
	;; [unrolled: 1-line block ×3, first 2 shown]
	v_add_f64 v[36:37], v[50:51], -v[60:61]
	v_add_f64 v[28:29], v[30:31], -v[28:29]
	;; [unrolled: 1-line block ×3, first 2 shown]
	s_mov_b32 s6, 0x36b3c0b5
	s_mov_b32 s7, 0x3fac98ee
	;; [unrolled: 1-line block ×6, first 2 shown]
	v_add_f64 v[38:39], v[32:33], v[26:27]
	v_add_f64 v[40:41], v[26:27], -v[34:35]
	v_add_f64 v[42:43], v[34:35], -v[32:33]
	;; [unrolled: 1-line block ×5, first 2 shown]
	v_add_f64 v[32:33], v[28:29], v[36:37]
	v_add_f64 v[28:29], v[30:31], -v[28:29]
	v_add_f64 v[34:35], v[34:35], v[38:39]
	v_mul_f64 v[36:37], v[40:41], s[4:5]
	s_mov_b32 s4, 0x429ad128
	v_mul_f64 v[40:41], v[44:45], s[10:11]
	s_mov_b32 s5, 0x3febfeb5
	v_mul_f64 v[38:39], v[42:43], s[6:7]
	v_mul_f64 v[44:45], v[46:47], s[4:5]
	s_mov_b32 s10, 0xaaaaaaaa
	s_mov_b32 s11, 0xbff2aaaa
	v_add_f64 v[30:31], v[32:33], v[30:31]
	v_add_f64 v[4:5], v[4:5], v[34:35]
	v_fma_f64 v[32:33], v[42:43], s[6:7], v[36:37]
	v_fma_f64 v[42:43], v[28:29], s[14:15], v[40:41]
	s_mov_b32 s15, 0xbfd5d0dc
	v_fma_f64 v[38:39], v[26:27], s[12:13], -v[38:39]
	s_mov_b32 s13, 0xbfe77f67
	v_fma_f64 v[40:41], v[46:47], s[4:5], -v[40:41]
	v_fma_f64 v[28:29], v[28:29], s[14:15], -v[44:45]
	v_fma_f64 v[26:27], v[26:27], s[12:13], -v[36:37]
	s_mov_b32 s4, 0x37c3f68c
	s_mov_b32 s5, 0x3fdc38aa
	v_fma_f64 v[34:35], v[34:35], s[10:11], v[4:5]
	v_fma_f64 v[36:37], v[30:31], s[4:5], v[42:43]
	v_fma_f64 v[40:41], v[30:31], s[4:5], v[40:41]
	v_fma_f64 v[28:29], v[30:31], s[4:5], v[28:29]
	v_add_f64 v[30:31], v[32:33], v[34:35]
	v_add_f64 v[26:27], v[26:27], v[34:35]
	;; [unrolled: 1-line block ×3, first 2 shown]
	v_add_f64 v[34:35], v[30:31], -v[36:37]
	v_add_f64 v[38:39], v[26:27], -v[28:29]
	v_add_f64 v[42:43], v[40:41], v[32:33]
	v_add_f64 v[32:33], v[32:33], -v[40:41]
	v_add_f64 v[26:27], v[28:29], v[26:27]
	v_add_f64 v[28:29], v[36:37], v[30:31]
	v_mov_b32_e32 v30, 0x770
	v_mov_b32_e32 v31, 3
	v_mul_u32_u24_sdwa v30, v68, v30 dst_sel:DWORD dst_unused:UNUSED_PAD src0_sel:WORD_0 src1_sel:DWORD
	v_lshlrev_b32_sdwa v31, v31, v69 dst_sel:DWORD dst_unused:UNUSED_PAD src0_sel:DWORD src1_sel:BYTE_0
	v_add3_u32 v30, 0, v30, v31
	ds_write2_b64 v30, v[4:5], v[34:35] offset1:34
	ds_write2_b64 v30, v[38:39], v[42:43] offset0:68 offset1:102
	ds_write2_b64 v30, v[32:33], v[26:27] offset0:136 offset1:170
	ds_write_b64 v30, v[28:29] offset:1632
.LBB0_23:
	s_or_b32 exec_lo, exec_lo, s1
	s_waitcnt lgkmcnt(0)
	s_barrier
	buffer_gl0_inv
	s_and_saveexec_b32 s0, vcc_lo
	s_cbranch_execz .LBB0_25
; %bb.24:
	v_mul_u32_u24_e32 v4, 5, v108
	v_mul_u32_u24_e32 v5, 5, v96
	v_mov_b32_e32 v97, 0
	v_mul_hi_u32 v102, 0x44d72045, v108
	v_add_nc_u32_e32 v82, 0xc00, v160
	v_lshlrev_b32_e32 v4, 4, v4
	v_lshlrev_b32_e32 v5, 4, v5
	v_add_nc_u32_e32 v86, 0x1c00, v160
	s_mov_b32 s5, 0xbfebb67a
	v_add_co_u32 v26, s0, s8, v4
	v_add_co_ci_u32_e64 v27, null, s9, 0, s0
	v_add_co_u32 v30, s0, s8, v5
	v_add_co_u32 v4, vcc_lo, 0xdd0, v26
	v_add_co_ci_u32_e32 v5, vcc_lo, 0, v27, vcc_lo
	v_add_co_ci_u32_e64 v31, null, s9, 0, s0
	v_add_co_u32 v42, vcc_lo, 0x800, v26
	v_add_co_ci_u32_e32 v43, vcc_lo, 0, v27, vcc_lo
	v_add_co_u32 v62, vcc_lo, 0xdd0, v30
	global_load_dwordx4 v[26:29], v[4:5], off offset:32
	v_add_co_ci_u32_e32 v63, vcc_lo, 0, v31, vcc_lo
	v_add_co_u32 v46, vcc_lo, 0x800, v30
	v_add_co_ci_u32_e32 v47, vcc_lo, 0, v31, vcc_lo
	s_clause 0x8
	global_load_dwordx4 v[30:33], v[42:43], off offset:1552
	global_load_dwordx4 v[34:37], v[62:63], off offset:32
	;; [unrolled: 1-line block ×9, first 2 shown]
	v_add_nc_u32_e32 v4, 0x1400, v160
	v_add_nc_u32_e32 v5, 0x2400, v160
	ds_read2_b64 v[66:69], v4 offset0:74 offset1:193
	ds_read2_b64 v[70:73], v5 offset0:38 offset1:157
	v_add_nc_u32_e32 v4, 0x400, v160
	v_add_co_u32 v100, vcc_lo, s2, v98
	v_add_co_ci_u32_e32 v101, vcc_lo, s3, v99, vcc_lo
	ds_read2_b64 v[78:81], v4 offset0:110 offset1:229
	v_lshlrev_b64 v[98:99], 4, v[96:97]
	v_lshrrev_b32_e32 v96, 6, v102
	ds_read2_b64 v[74:77], v160 offset1:119
	ds_read2_b64 v[82:85], v82 offset0:92 offset1:211
	ds_read2_b64 v[86:89], v86 offset0:56 offset1:175
	s_mov_b32 s0, 0xe8584caa
	s_mov_b32 s1, 0x3febb67a
	v_add_co_u32 v98, vcc_lo, v100, v98
	v_add_co_ci_u32_e32 v99, vcc_lo, v101, v99, vcc_lo
	s_mov_b32 s4, s0
	v_mul_u32_u24_e32 v96, 0x4a6, v96
	s_waitcnt vmcnt(8) lgkmcnt(4)
	v_mul_f64 v[90:91], v[72:73], v[32:33]
	v_mul_f64 v[4:5], v[68:69], v[28:29]
	;; [unrolled: 1-line block ×4, first 2 shown]
	s_waitcnt vmcnt(7)
	v_mul_f64 v[92:93], v[66:67], v[36:37]
	s_waitcnt vmcnt(6)
	v_mul_f64 v[94:95], v[70:71], v[40:41]
	v_mul_f64 v[36:37], v[18:19], v[36:37]
	;; [unrolled: 1-line block ×3, first 2 shown]
	s_waitcnt vmcnt(5) lgkmcnt(3)
	v_mul_f64 v[100:101], v[80:81], v[44:45]
	v_mul_f64 v[44:45], v[16:17], v[44:45]
	s_waitcnt vmcnt(4)
	v_mul_f64 v[102:103], v[78:79], v[48:49]
	v_mul_f64 v[48:49], v[14:15], v[48:49]
	v_fma_f64 v[4:5], v[20:21], v[26:27], -v[4:5]
	v_fma_f64 v[20:21], v[24:25], v[30:31], -v[90:91]
	v_fma_f64 v[24:25], v[26:27], v[68:69], v[28:29]
	v_fma_f64 v[26:27], v[30:31], v[72:73], v[32:33]
	v_fma_f64 v[18:19], v[18:19], v[34:35], -v[92:93]
	v_fma_f64 v[22:23], v[22:23], v[38:39], -v[94:95]
	v_fma_f64 v[28:29], v[34:35], v[66:67], v[36:37]
	v_fma_f64 v[30:31], v[38:39], v[70:71], v[40:41]
	s_waitcnt vmcnt(3) lgkmcnt(1)
	v_mul_f64 v[32:33], v[84:85], v[52:53]
	s_waitcnt vmcnt(2) lgkmcnt(0)
	v_mul_f64 v[34:35], v[88:89], v[56:57]
	v_mul_f64 v[36:37], v[8:9], v[52:53]
	;; [unrolled: 1-line block ×3, first 2 shown]
	s_waitcnt vmcnt(1)
	v_mul_f64 v[40:41], v[82:83], v[60:61]
	s_waitcnt vmcnt(0)
	v_mul_f64 v[52:53], v[86:87], v[64:65]
	v_mul_f64 v[56:57], v[6:7], v[60:61]
	;; [unrolled: 1-line block ×3, first 2 shown]
	v_fma_f64 v[16:17], v[16:17], v[42:43], -v[100:101]
	v_fma_f64 v[42:43], v[42:43], v[80:81], v[44:45]
	v_fma_f64 v[14:15], v[14:15], v[46:47], -v[102:103]
	v_fma_f64 v[44:45], v[46:47], v[78:79], v[48:49]
	v_add_co_u32 v66, vcc_lo, 0x800, v98
	v_add_co_ci_u32_e32 v67, vcc_lo, 0, v99, vcc_lo
	v_add_f64 v[46:47], v[4:5], v[20:21]
	v_add_f64 v[48:49], v[24:25], v[26:27]
	v_add_co_u32 v68, vcc_lo, 0x1800, v98
	v_add_f64 v[64:65], v[18:19], v[22:23]
	v_add_f64 v[70:71], v[28:29], v[30:31]
	v_fma_f64 v[8:9], v[8:9], v[50:51], -v[32:33]
	v_fma_f64 v[12:13], v[12:13], v[54:55], -v[34:35]
	v_fma_f64 v[32:33], v[50:51], v[84:85], v[36:37]
	v_fma_f64 v[34:35], v[54:55], v[88:89], v[38:39]
	v_fma_f64 v[6:7], v[6:7], v[58:59], -v[40:41]
	v_fma_f64 v[10:11], v[10:11], v[62:63], -v[52:53]
	v_fma_f64 v[36:37], v[58:59], v[82:83], v[56:57]
	v_fma_f64 v[38:39], v[62:63], v[86:87], v[60:61]
	v_add_f64 v[40:41], v[24:25], -v[26:27]
	v_add_f64 v[50:51], v[4:5], -v[20:21]
	;; [unrolled: 1-line block ×4, first 2 shown]
	v_add_f64 v[24:25], v[42:43], v[24:25]
	v_add_f64 v[4:5], v[16:17], v[4:5]
	;; [unrolled: 1-line block ×3, first 2 shown]
	v_add_co_ci_u32_e32 v69, vcc_lo, 0, v99, vcc_lo
	v_fma_f64 v[48:49], v[48:49], -0.5, v[42:43]
	v_fma_f64 v[46:47], v[46:47], -0.5, v[16:17]
	v_add_co_u32 v72, vcc_lo, 0x2800, v98
	v_fma_f64 v[56:57], v[64:65], -0.5, v[14:15]
	v_fma_f64 v[58:59], v[70:71], -0.5, v[44:45]
	v_add_f64 v[82:83], v[8:9], v[12:13]
	v_lshlrev_b64 v[80:81], 4, v[96:97]
	v_add_f64 v[70:71], v[32:33], v[34:35]
	v_add_co_ci_u32_e32 v73, vcc_lo, 0, v99, vcc_lo
	v_add_f64 v[88:89], v[6:7], v[10:11]
	v_add_f64 v[84:85], v[36:37], v[38:39]
	v_add_co_u32 v78, vcc_lo, 0x3800, v98
	v_add_co_ci_u32_e32 v79, vcc_lo, 0, v99, vcc_lo
	v_add_co_u32 v60, vcc_lo, v98, v80
	v_add_co_ci_u32_e32 v61, vcc_lo, v99, v81, vcc_lo
	v_add_f64 v[80:81], v[8:9], -v[12:13]
	v_fma_f64 v[90:91], v[50:51], s[0:1], v[48:49]
	v_fma_f64 v[92:93], v[40:41], s[0:1], v[46:47]
	;; [unrolled: 1-line block ×8, first 2 shown]
	v_add_f64 v[8:9], v[2:3], v[8:9]
	v_add_f64 v[16:17], v[36:37], v[74:75]
	;; [unrolled: 1-line block ×5, first 2 shown]
	v_fma_f64 v[18:19], v[70:71], -0.5, v[76:77]
	v_add_f64 v[6:7], v[6:7], -v[10:11]
	v_fma_f64 v[50:51], v[84:85], -0.5, v[74:75]
	v_add_f64 v[36:37], v[36:37], -v[38:39]
	v_fma_f64 v[0:1], v[88:89], -0.5, v[0:1]
	v_fma_f64 v[2:3], v[82:83], -0.5, v[2:3]
	v_add_f64 v[32:33], v[32:33], -v[34:35]
	v_add_f64 v[4:5], v[4:5], v[20:21]
	v_add_f64 v[24:25], v[24:25], v[26:27]
	v_mul_f64 v[56:57], v[90:91], -0.5
	v_mul_f64 v[58:59], v[92:93], s[4:5]
	v_mul_f64 v[70:71], v[40:41], -0.5
	v_mul_f64 v[20:21], v[44:45], s[0:1]
	v_mul_f64 v[76:77], v[46:47], s[4:5]
	v_mul_f64 v[74:75], v[42:43], -0.5
	v_mul_f64 v[84:85], v[54:55], s[0:1]
	v_mul_f64 v[82:83], v[52:53], -0.5
	v_add_f64 v[8:9], v[8:9], v[12:13]
	v_add_f64 v[12:13], v[16:17], v[38:39]
	;; [unrolled: 1-line block ×6, first 2 shown]
	v_fma_f64 v[28:29], v[80:81], s[0:1], v[18:19]
	v_fma_f64 v[38:39], v[6:7], s[0:1], v[50:51]
	;; [unrolled: 1-line block ×6, first 2 shown]
	v_add_co_u32 v62, vcc_lo, 0x4800, v98
	v_fma_f64 v[30:31], v[40:41], s[4:5], v[56:57]
	v_fma_f64 v[44:45], v[44:45], 0.5, v[58:59]
	v_fma_f64 v[58:59], v[36:37], s[0:1], v[0:1]
	v_fma_f64 v[56:57], v[90:91], s[0:1], v[70:71]
	v_fma_f64 v[40:41], v[54:55], 0.5, v[76:77]
	v_fma_f64 v[36:37], v[52:53], s[4:5], v[74:75]
	v_fma_f64 v[46:47], v[46:47], 0.5, v[84:85]
	v_fma_f64 v[52:53], v[42:43], s[0:1], v[82:83]
	v_fma_f64 v[70:71], v[32:33], s[0:1], v[2:3]
	v_fma_f64 v[20:21], v[92:93], 0.5, v[20:21]
	v_add_f64 v[10:11], v[12:13], -v[16:17]
	v_add_f64 v[14:15], v[12:13], v[16:17]
	v_add_f64 v[12:13], v[26:27], v[22:23]
	v_add_f64 v[0:1], v[8:9], -v[4:5]
	v_add_f64 v[4:5], v[8:9], v[4:5]
	v_add_f64 v[8:9], v[26:27], -v[22:23]
	v_add_f64 v[2:3], v[34:35], -v[24:25]
	v_add_f64 v[6:7], v[34:35], v[24:25]
	v_add_co_ci_u32_e32 v63, vcc_lo, 0, v99, vcc_lo
	v_add_co_u32 v64, vcc_lo, 0x1000, v60
	v_add_f64 v[18:19], v[28:29], -v[30:31]
	v_add_f64 v[26:27], v[28:29], v[30:31]
	v_add_f64 v[22:23], v[48:49], -v[44:45]
	v_add_f64 v[24:25], v[80:81], v[56:57]
	;; [unrolled: 2-line block ×3, first 2 shown]
	v_add_f64 v[40:41], v[58:59], v[46:47]
	v_add_f64 v[30:31], v[38:39], -v[36:37]
	v_add_f64 v[38:39], v[38:39], v[36:37]
	v_add_f64 v[36:37], v[86:87], v[52:53]
	v_add_f64 v[32:33], v[58:59], -v[46:47]
	v_add_f64 v[28:29], v[86:87], -v[52:53]
	v_add_f64 v[46:47], v[48:49], v[44:45]
	v_add_f64 v[44:45], v[70:71], v[20:21]
	v_add_co_ci_u32_e32 v65, vcc_lo, 0, v61, vcc_lo
	v_add_f64 v[20:21], v[70:71], -v[20:21]
	v_add_co_u32 v54, vcc_lo, 0x2000, v60
	v_add_f64 v[16:17], v[80:81], -v[56:57]
	v_add_co_ci_u32_e32 v55, vcc_lo, 0, v61, vcc_lo
	v_add_co_u32 v48, vcc_lo, 0x3000, v60
	v_add_co_ci_u32_e32 v49, vcc_lo, 0, v61, vcc_lo
	v_add_co_u32 v50, vcc_lo, 0x4000, v60
	v_add_co_ci_u32_e32 v51, vcc_lo, 0, v61, vcc_lo
	v_add_co_u32 v52, vcc_lo, 0x5000, v60
	v_add_co_ci_u32_e32 v53, vcc_lo, 0, v61, vcc_lo
	global_store_dwordx4 v[98:99], v[12:15], off
	global_store_dwordx4 v[72:73], v[8:11], off offset:1184
	global_store_dwordx4 v[66:67], v[40:43], off offset:1760
	;; [unrolled: 1-line block ×11, first 2 shown]
.LBB0_25:
	s_endpgm
	.section	.rodata,"a",@progbits
	.p2align	6, 0x0
	.amdhsa_kernel fft_rtc_fwd_len1428_factors_17_2_7_6_wgs_119_tpt_119_halfLds_dp_ip_CI_unitstride_sbrr_dirReg
		.amdhsa_group_segment_fixed_size 0
		.amdhsa_private_segment_fixed_size 0
		.amdhsa_kernarg_size 88
		.amdhsa_user_sgpr_count 6
		.amdhsa_user_sgpr_private_segment_buffer 1
		.amdhsa_user_sgpr_dispatch_ptr 0
		.amdhsa_user_sgpr_queue_ptr 0
		.amdhsa_user_sgpr_kernarg_segment_ptr 1
		.amdhsa_user_sgpr_dispatch_id 0
		.amdhsa_user_sgpr_flat_scratch_init 0
		.amdhsa_user_sgpr_private_segment_size 0
		.amdhsa_wavefront_size32 1
		.amdhsa_uses_dynamic_stack 0
		.amdhsa_system_sgpr_private_segment_wavefront_offset 0
		.amdhsa_system_sgpr_workgroup_id_x 1
		.amdhsa_system_sgpr_workgroup_id_y 0
		.amdhsa_system_sgpr_workgroup_id_z 0
		.amdhsa_system_sgpr_workgroup_info 0
		.amdhsa_system_vgpr_workitem_id 0
		.amdhsa_next_free_vgpr 254
		.amdhsa_next_free_sgpr 58
		.amdhsa_reserve_vcc 1
		.amdhsa_reserve_flat_scratch 0
		.amdhsa_float_round_mode_32 0
		.amdhsa_float_round_mode_16_64 0
		.amdhsa_float_denorm_mode_32 3
		.amdhsa_float_denorm_mode_16_64 3
		.amdhsa_dx10_clamp 1
		.amdhsa_ieee_mode 1
		.amdhsa_fp16_overflow 0
		.amdhsa_workgroup_processor_mode 1
		.amdhsa_memory_ordered 1
		.amdhsa_forward_progress 0
		.amdhsa_shared_vgpr_count 0
		.amdhsa_exception_fp_ieee_invalid_op 0
		.amdhsa_exception_fp_denorm_src 0
		.amdhsa_exception_fp_ieee_div_zero 0
		.amdhsa_exception_fp_ieee_overflow 0
		.amdhsa_exception_fp_ieee_underflow 0
		.amdhsa_exception_fp_ieee_inexact 0
		.amdhsa_exception_int_div_zero 0
	.end_amdhsa_kernel
	.text
.Lfunc_end0:
	.size	fft_rtc_fwd_len1428_factors_17_2_7_6_wgs_119_tpt_119_halfLds_dp_ip_CI_unitstride_sbrr_dirReg, .Lfunc_end0-fft_rtc_fwd_len1428_factors_17_2_7_6_wgs_119_tpt_119_halfLds_dp_ip_CI_unitstride_sbrr_dirReg
                                        ; -- End function
	.section	.AMDGPU.csdata,"",@progbits
; Kernel info:
; codeLenInByte = 14120
; NumSgprs: 60
; NumVgprs: 254
; ScratchSize: 0
; MemoryBound: 1
; FloatMode: 240
; IeeeMode: 1
; LDSByteSize: 0 bytes/workgroup (compile time only)
; SGPRBlocks: 7
; VGPRBlocks: 31
; NumSGPRsForWavesPerEU: 60
; NumVGPRsForWavesPerEU: 254
; Occupancy: 4
; WaveLimiterHint : 1
; COMPUTE_PGM_RSRC2:SCRATCH_EN: 0
; COMPUTE_PGM_RSRC2:USER_SGPR: 6
; COMPUTE_PGM_RSRC2:TRAP_HANDLER: 0
; COMPUTE_PGM_RSRC2:TGID_X_EN: 1
; COMPUTE_PGM_RSRC2:TGID_Y_EN: 0
; COMPUTE_PGM_RSRC2:TGID_Z_EN: 0
; COMPUTE_PGM_RSRC2:TIDIG_COMP_CNT: 0
	.text
	.p2alignl 6, 3214868480
	.fill 48, 4, 3214868480
	.type	__hip_cuid_d00077bf7a62ad4b,@object ; @__hip_cuid_d00077bf7a62ad4b
	.section	.bss,"aw",@nobits
	.globl	__hip_cuid_d00077bf7a62ad4b
__hip_cuid_d00077bf7a62ad4b:
	.byte	0                               ; 0x0
	.size	__hip_cuid_d00077bf7a62ad4b, 1

	.ident	"AMD clang version 19.0.0git (https://github.com/RadeonOpenCompute/llvm-project roc-6.4.0 25133 c7fe45cf4b819c5991fe208aaa96edf142730f1d)"
	.section	".note.GNU-stack","",@progbits
	.addrsig
	.addrsig_sym __hip_cuid_d00077bf7a62ad4b
	.amdgpu_metadata
---
amdhsa.kernels:
  - .args:
      - .actual_access:  read_only
        .address_space:  global
        .offset:         0
        .size:           8
        .value_kind:     global_buffer
      - .offset:         8
        .size:           8
        .value_kind:     by_value
      - .actual_access:  read_only
        .address_space:  global
        .offset:         16
        .size:           8
        .value_kind:     global_buffer
      - .actual_access:  read_only
        .address_space:  global
        .offset:         24
        .size:           8
        .value_kind:     global_buffer
      - .offset:         32
        .size:           8
        .value_kind:     by_value
      - .actual_access:  read_only
        .address_space:  global
        .offset:         40
        .size:           8
        .value_kind:     global_buffer
      - .actual_access:  read_only
        .address_space:  global
        .offset:         48
        .size:           8
        .value_kind:     global_buffer
      - .offset:         56
        .size:           4
        .value_kind:     by_value
      - .actual_access:  read_only
        .address_space:  global
        .offset:         64
        .size:           8
        .value_kind:     global_buffer
      - .actual_access:  read_only
        .address_space:  global
        .offset:         72
        .size:           8
        .value_kind:     global_buffer
      - .address_space:  global
        .offset:         80
        .size:           8
        .value_kind:     global_buffer
    .group_segment_fixed_size: 0
    .kernarg_segment_align: 8
    .kernarg_segment_size: 88
    .language:       OpenCL C
    .language_version:
      - 2
      - 0
    .max_flat_workgroup_size: 119
    .name:           fft_rtc_fwd_len1428_factors_17_2_7_6_wgs_119_tpt_119_halfLds_dp_ip_CI_unitstride_sbrr_dirReg
    .private_segment_fixed_size: 0
    .sgpr_count:     60
    .sgpr_spill_count: 0
    .symbol:         fft_rtc_fwd_len1428_factors_17_2_7_6_wgs_119_tpt_119_halfLds_dp_ip_CI_unitstride_sbrr_dirReg.kd
    .uniform_work_group_size: 1
    .uses_dynamic_stack: false
    .vgpr_count:     254
    .vgpr_spill_count: 0
    .wavefront_size: 32
    .workgroup_processor_mode: 1
amdhsa.target:   amdgcn-amd-amdhsa--gfx1030
amdhsa.version:
  - 1
  - 2
...

	.end_amdgpu_metadata
